;; amdgpu-corpus repo=ROCm/rccl kind=compiled arch=gfx1250 opt=O3
	.amdgcn_target "amdgcn-amd-amdhsa--gfx1250"
	.amdhsa_code_object_version 6
	.text
	.p2align	2                               ; -- Begin function __ockl_fprintf_append_string_n
	.type	__ockl_fprintf_append_string_n,@function
__ockl_fprintf_append_string_n:         ; @__ockl_fprintf_append_string_n
; %bb.0:
	s_wait_loadcnt_dscnt 0x0
	s_wait_kmcnt 0x0
	v_or_b32_e32 v2, 2, v0
	v_cmp_eq_u32_e32 vcc_lo, 0, v6
	v_mbcnt_lo_u32_b32 v30, -1, 0
	s_get_pc_i64 s[0:1]
	s_add_nc_u64 s[0:1], s[0:1], .str.3@rel64+4
	s_mov_b32 s6, 0
	s_cmp_lg_u64 s[0:1], 0
	v_cndmask_b32_e32 v3, v2, v0, vcc_lo
	s_cbranch_scc0 .LBB0_113
; %bb.1:
	s_load_b64 s[2:3], s[8:9], 0x50
	s_delay_alu instid0(VALU_DEP_1) | instskip(SKIP_3) | instid1(VALU_DEP_4)
	v_dual_mov_b32 v7, 0 :: v_dual_bitop2_b32 v0, -3, v3 bitop3:0x40
	v_mov_b64_e32 v[8:9], 0x100000002
	v_mov_b64_e32 v[32:33], s[0:1]
	v_and_b32_e32 v2, 2, v3
	v_mov_b64_e32 v[10:11], v[0:1]
	s_mov_b32 s7, 0
	s_branch .LBB0_3
.LBB0_2:                                ;   in Loop: Header=BB0_3 Depth=1
	s_or_b32 exec_lo, exec_lo, s10
	v_sub_nc_u64_e32 v[4:5], v[4:5], v[34:35]
	v_add_nc_u64_e32 v[32:33], v[32:33], v[34:35]
	s_delay_alu instid0(VALU_DEP_2) | instskip(SKIP_1) | instid1(SALU_CYCLE_1)
	v_cmp_eq_u64_e32 vcc_lo, 0, v[4:5]
	s_or_b32 s7, vcc_lo, s7
	s_and_not1_b32 exec_lo, exec_lo, s7
	s_cbranch_execz .LBB0_85
.LBB0_3:                                ; =>This Loop Header: Depth=1
                                        ;     Child Loop BB0_6 Depth 2
                                        ;     Child Loop BB0_14 Depth 2
	;; [unrolled: 1-line block ×11, first 2 shown]
	v_min_u64 v[34:35], v[4:5], 56
	s_delay_alu instid0(VALU_DEP_3)
	v_add_nc_u64_e32 v[16:17], 8, v[32:33]
	s_mov_b32 s0, exec_lo
	v_cmpx_gt_u64_e32 8, v[4:5]
	s_xor_b32 s4, exec_lo, s0
	s_cbranch_execz .LBB0_9
; %bb.4:                                ;   in Loop: Header=BB0_3 Depth=1
	s_wait_loadcnt 0x0
	v_mov_b64_e32 v[12:13], 0
	s_mov_b32 s5, exec_lo
	v_cmpx_ne_u64_e32 0, v[4:5]
	s_cbranch_execz .LBB0_8
; %bb.5:                                ;   in Loop: Header=BB0_3 Depth=1
	v_mov_b64_e32 v[12:13], 0
	v_mov_b64_e32 v[14:15], v[32:33]
	v_lshlrev_b32_e32 v0, 3, v34
	s_mov_b64 s[0:1], 0
	s_mov_b32 s10, 0
.LBB0_6:                                ;   Parent Loop BB0_3 Depth=1
                                        ; =>  This Inner Loop Header: Depth=2
	global_load_u8 v6, v[14:15], off
	v_mov_b32_e32 v17, s6
	s_wait_xcnt 0x0
	v_add_nc_u64_e32 v[14:15], 1, v[14:15]
	s_wait_loadcnt 0x0
	v_and_b32_e32 v16, 0xffff, v6
	s_delay_alu instid0(VALU_DEP_1) | instskip(SKIP_1) | instid1(SALU_CYCLE_1)
	v_lshlrev_b64_e32 v[16:17], s0, v[16:17]
	s_add_nc_u64 s[0:1], s[0:1], 8
	v_cmp_eq_u32_e32 vcc_lo, s0, v0
	s_delay_alu instid0(VALU_DEP_2) | instskip(NEXT) | instid1(VALU_DEP_3)
	v_or_b32_e32 v13, v17, v13
	v_or_b32_e32 v12, v16, v12
	s_or_b32 s10, vcc_lo, s10
	s_delay_alu instid0(SALU_CYCLE_1)
	s_and_not1_b32 exec_lo, exec_lo, s10
	s_cbranch_execnz .LBB0_6
; %bb.7:                                ;   in Loop: Header=BB0_3 Depth=1
	s_or_b32 exec_lo, exec_lo, s10
.LBB0_8:                                ;   in Loop: Header=BB0_3 Depth=1
	s_delay_alu instid0(SALU_CYCLE_1)
	s_or_b32 exec_lo, exec_lo, s5
	v_mov_b64_e32 v[16:17], v[32:33]
.LBB0_9:                                ;   in Loop: Header=BB0_3 Depth=1
	s_or_saveexec_b32 s0, s4
	v_mov_b32_e32 v0, 0
	s_xor_b32 exec_lo, exec_lo, s0
	s_cbranch_execz .LBB0_11
; %bb.10:                               ;   in Loop: Header=BB0_3 Depth=1
	s_wait_loadcnt 0x0
	global_load_b64 v[12:13], v[32:33], off
	v_add_nc_u32_e32 v0, -8, v34
.LBB0_11:                               ;   in Loop: Header=BB0_3 Depth=1
	s_wait_xcnt 0x0
	s_or_b32 exec_lo, exec_lo, s0
	v_add_nc_u64_e32 v[18:19], 8, v[16:17]
                                        ; implicit-def: $vgpr14_vgpr15
	s_mov_b32 s0, exec_lo
	v_cmpx_gt_u32_e32 8, v0
	s_xor_b32 s10, exec_lo, s0
	s_cbranch_execz .LBB0_17
; %bb.12:                               ;   in Loop: Header=BB0_3 Depth=1
	v_mov_b64_e32 v[14:15], 0
	s_mov_b32 s11, exec_lo
	v_cmpx_ne_u32_e32 0, v0
	s_cbranch_execz .LBB0_16
; %bb.13:                               ;   in Loop: Header=BB0_3 Depth=1
	v_mov_b64_e32 v[14:15], 0
	s_mov_b64 s[0:1], 0
	s_mov_b32 s12, 0
	s_mov_b64 s[4:5], 0
.LBB0_14:                               ;   Parent Loop BB0_3 Depth=1
                                        ; =>  This Inner Loop Header: Depth=2
	s_delay_alu instid0(SALU_CYCLE_1) | instskip(SKIP_1) | instid1(SALU_CYCLE_1)
	v_add_nc_u64_e32 v[18:19], s[4:5], v[16:17]
	s_add_nc_u64 s[4:5], s[4:5], 1
	v_cmp_eq_u32_e32 vcc_lo, s4, v0
	global_load_u8 v6, v[18:19], off
	s_wait_xcnt 0x0
	v_mov_b32_e32 v19, s6
	s_or_b32 s12, vcc_lo, s12
	s_wait_loadcnt 0x0
	v_and_b32_e32 v18, 0xffff, v6
	s_delay_alu instid0(VALU_DEP_1) | instskip(SKIP_1) | instid1(VALU_DEP_1)
	v_lshlrev_b64_e32 v[18:19], s0, v[18:19]
	s_add_nc_u64 s[0:1], s[0:1], 8
	v_or_b32_e32 v15, v19, v15
	s_delay_alu instid0(VALU_DEP_2)
	v_or_b32_e32 v14, v18, v14
	s_and_not1_b32 exec_lo, exec_lo, s12
	s_cbranch_execnz .LBB0_14
; %bb.15:                               ;   in Loop: Header=BB0_3 Depth=1
	s_or_b32 exec_lo, exec_lo, s12
.LBB0_16:                               ;   in Loop: Header=BB0_3 Depth=1
	s_delay_alu instid0(SALU_CYCLE_1)
	s_or_b32 exec_lo, exec_lo, s11
	v_mov_b64_e32 v[18:19], v[16:17]
                                        ; implicit-def: $vgpr0
.LBB0_17:                               ;   in Loop: Header=BB0_3 Depth=1
	s_or_saveexec_b32 s0, s10
	v_mov_b32_e32 v6, 0
	s_xor_b32 exec_lo, exec_lo, s0
	s_cbranch_execz .LBB0_19
; %bb.18:                               ;   in Loop: Header=BB0_3 Depth=1
	global_load_b64 v[14:15], v[16:17], off
	v_add_nc_u32_e32 v6, -8, v0
.LBB0_19:                               ;   in Loop: Header=BB0_3 Depth=1
	s_wait_xcnt 0x0
	s_or_b32 exec_lo, exec_lo, s0
	v_add_nc_u64_e32 v[20:21], 8, v[18:19]
	s_mov_b32 s0, exec_lo
	v_cmpx_gt_u32_e32 8, v6
	s_xor_b32 s10, exec_lo, s0
	s_cbranch_execz .LBB0_25
; %bb.20:                               ;   in Loop: Header=BB0_3 Depth=1
	v_mov_b64_e32 v[16:17], 0
	s_mov_b32 s11, exec_lo
	v_cmpx_ne_u32_e32 0, v6
	s_cbranch_execz .LBB0_24
; %bb.21:                               ;   in Loop: Header=BB0_3 Depth=1
	v_mov_b64_e32 v[16:17], 0
	s_mov_b64 s[0:1], 0
	s_mov_b32 s12, 0
	s_mov_b64 s[4:5], 0
.LBB0_22:                               ;   Parent Loop BB0_3 Depth=1
                                        ; =>  This Inner Loop Header: Depth=2
	s_delay_alu instid0(SALU_CYCLE_1) | instskip(SKIP_1) | instid1(SALU_CYCLE_1)
	v_add_nc_u64_e32 v[20:21], s[4:5], v[18:19]
	s_add_nc_u64 s[4:5], s[4:5], 1
	v_cmp_eq_u32_e32 vcc_lo, s4, v6
	global_load_u8 v0, v[20:21], off
	s_wait_xcnt 0x0
	v_mov_b32_e32 v21, s6
	s_or_b32 s12, vcc_lo, s12
	s_wait_loadcnt 0x0
	v_and_b32_e32 v20, 0xffff, v0
	s_delay_alu instid0(VALU_DEP_1) | instskip(SKIP_1) | instid1(VALU_DEP_1)
	v_lshlrev_b64_e32 v[20:21], s0, v[20:21]
	s_add_nc_u64 s[0:1], s[0:1], 8
	v_or_b32_e32 v17, v21, v17
	s_delay_alu instid0(VALU_DEP_2)
	v_or_b32_e32 v16, v20, v16
	s_and_not1_b32 exec_lo, exec_lo, s12
	s_cbranch_execnz .LBB0_22
; %bb.23:                               ;   in Loop: Header=BB0_3 Depth=1
	s_or_b32 exec_lo, exec_lo, s12
.LBB0_24:                               ;   in Loop: Header=BB0_3 Depth=1
	s_delay_alu instid0(SALU_CYCLE_1)
	s_or_b32 exec_lo, exec_lo, s11
	v_mov_b64_e32 v[20:21], v[18:19]
                                        ; implicit-def: $vgpr6
.LBB0_25:                               ;   in Loop: Header=BB0_3 Depth=1
	s_or_saveexec_b32 s0, s10
	v_mov_b32_e32 v0, 0
	s_xor_b32 exec_lo, exec_lo, s0
	s_cbranch_execz .LBB0_27
; %bb.26:                               ;   in Loop: Header=BB0_3 Depth=1
	global_load_b64 v[16:17], v[18:19], off
	v_add_nc_u32_e32 v0, -8, v6
.LBB0_27:                               ;   in Loop: Header=BB0_3 Depth=1
	s_wait_xcnt 0x0
	s_or_b32 exec_lo, exec_lo, s0
	v_add_nc_u64_e32 v[22:23], 8, v[20:21]
                                        ; implicit-def: $vgpr18_vgpr19
	s_mov_b32 s0, exec_lo
	v_cmpx_gt_u32_e32 8, v0
	s_xor_b32 s10, exec_lo, s0
	s_cbranch_execz .LBB0_33
; %bb.28:                               ;   in Loop: Header=BB0_3 Depth=1
	v_mov_b64_e32 v[18:19], 0
	s_mov_b32 s11, exec_lo
	v_cmpx_ne_u32_e32 0, v0
	s_cbranch_execz .LBB0_32
; %bb.29:                               ;   in Loop: Header=BB0_3 Depth=1
	v_mov_b64_e32 v[18:19], 0
	s_mov_b64 s[0:1], 0
	s_mov_b32 s12, 0
	s_mov_b64 s[4:5], 0
.LBB0_30:                               ;   Parent Loop BB0_3 Depth=1
                                        ; =>  This Inner Loop Header: Depth=2
	s_delay_alu instid0(SALU_CYCLE_1) | instskip(SKIP_1) | instid1(SALU_CYCLE_1)
	v_add_nc_u64_e32 v[22:23], s[4:5], v[20:21]
	s_add_nc_u64 s[4:5], s[4:5], 1
	v_cmp_eq_u32_e32 vcc_lo, s4, v0
	global_load_u8 v6, v[22:23], off
	s_wait_xcnt 0x0
	v_mov_b32_e32 v23, s6
	s_or_b32 s12, vcc_lo, s12
	s_wait_loadcnt 0x0
	v_and_b32_e32 v22, 0xffff, v6
	s_delay_alu instid0(VALU_DEP_1) | instskip(SKIP_1) | instid1(VALU_DEP_1)
	v_lshlrev_b64_e32 v[22:23], s0, v[22:23]
	s_add_nc_u64 s[0:1], s[0:1], 8
	v_or_b32_e32 v19, v23, v19
	s_delay_alu instid0(VALU_DEP_2)
	v_or_b32_e32 v18, v22, v18
	s_and_not1_b32 exec_lo, exec_lo, s12
	s_cbranch_execnz .LBB0_30
; %bb.31:                               ;   in Loop: Header=BB0_3 Depth=1
	s_or_b32 exec_lo, exec_lo, s12
.LBB0_32:                               ;   in Loop: Header=BB0_3 Depth=1
	s_delay_alu instid0(SALU_CYCLE_1)
	s_or_b32 exec_lo, exec_lo, s11
	v_mov_b64_e32 v[22:23], v[20:21]
                                        ; implicit-def: $vgpr0
.LBB0_33:                               ;   in Loop: Header=BB0_3 Depth=1
	s_or_saveexec_b32 s0, s10
	v_mov_b32_e32 v6, 0
	s_xor_b32 exec_lo, exec_lo, s0
	s_cbranch_execz .LBB0_35
; %bb.34:                               ;   in Loop: Header=BB0_3 Depth=1
	global_load_b64 v[18:19], v[20:21], off
	v_add_nc_u32_e32 v6, -8, v0
.LBB0_35:                               ;   in Loop: Header=BB0_3 Depth=1
	s_wait_xcnt 0x0
	s_or_b32 exec_lo, exec_lo, s0
	v_add_nc_u64_e32 v[24:25], 8, v[22:23]
	s_mov_b32 s0, exec_lo
	v_cmpx_gt_u32_e32 8, v6
	s_xor_b32 s10, exec_lo, s0
	s_cbranch_execz .LBB0_41
; %bb.36:                               ;   in Loop: Header=BB0_3 Depth=1
	v_mov_b64_e32 v[20:21], 0
	s_mov_b32 s11, exec_lo
	v_cmpx_ne_u32_e32 0, v6
	s_cbranch_execz .LBB0_40
; %bb.37:                               ;   in Loop: Header=BB0_3 Depth=1
	v_mov_b64_e32 v[20:21], 0
	s_mov_b64 s[0:1], 0
	s_mov_b32 s12, 0
	s_mov_b64 s[4:5], 0
.LBB0_38:                               ;   Parent Loop BB0_3 Depth=1
                                        ; =>  This Inner Loop Header: Depth=2
	s_delay_alu instid0(SALU_CYCLE_1) | instskip(SKIP_1) | instid1(SALU_CYCLE_1)
	v_add_nc_u64_e32 v[24:25], s[4:5], v[22:23]
	s_add_nc_u64 s[4:5], s[4:5], 1
	v_cmp_eq_u32_e32 vcc_lo, s4, v6
	global_load_u8 v0, v[24:25], off
	s_wait_xcnt 0x0
	v_mov_b32_e32 v25, s6
	s_or_b32 s12, vcc_lo, s12
	s_wait_loadcnt 0x0
	v_and_b32_e32 v24, 0xffff, v0
	s_delay_alu instid0(VALU_DEP_1) | instskip(SKIP_1) | instid1(VALU_DEP_1)
	v_lshlrev_b64_e32 v[24:25], s0, v[24:25]
	s_add_nc_u64 s[0:1], s[0:1], 8
	v_or_b32_e32 v21, v25, v21
	s_delay_alu instid0(VALU_DEP_2)
	v_or_b32_e32 v20, v24, v20
	s_and_not1_b32 exec_lo, exec_lo, s12
	s_cbranch_execnz .LBB0_38
; %bb.39:                               ;   in Loop: Header=BB0_3 Depth=1
	s_or_b32 exec_lo, exec_lo, s12
.LBB0_40:                               ;   in Loop: Header=BB0_3 Depth=1
	s_delay_alu instid0(SALU_CYCLE_1)
	s_or_b32 exec_lo, exec_lo, s11
	v_mov_b64_e32 v[24:25], v[22:23]
                                        ; implicit-def: $vgpr6
.LBB0_41:                               ;   in Loop: Header=BB0_3 Depth=1
	s_or_saveexec_b32 s0, s10
	v_mov_b32_e32 v0, 0
	s_xor_b32 exec_lo, exec_lo, s0
	s_cbranch_execz .LBB0_43
; %bb.42:                               ;   in Loop: Header=BB0_3 Depth=1
	global_load_b64 v[20:21], v[22:23], off
	v_add_nc_u32_e32 v0, -8, v6
.LBB0_43:                               ;   in Loop: Header=BB0_3 Depth=1
	s_wait_xcnt 0x0
	s_or_b32 exec_lo, exec_lo, s0
	v_add_nc_u64_e32 v[26:27], 8, v[24:25]
                                        ; implicit-def: $vgpr22_vgpr23
	s_mov_b32 s0, exec_lo
	v_cmpx_gt_u32_e32 8, v0
	s_xor_b32 s10, exec_lo, s0
	s_cbranch_execz .LBB0_49
; %bb.44:                               ;   in Loop: Header=BB0_3 Depth=1
	v_mov_b64_e32 v[22:23], 0
	s_mov_b32 s11, exec_lo
	v_cmpx_ne_u32_e32 0, v0
	s_cbranch_execz .LBB0_48
; %bb.45:                               ;   in Loop: Header=BB0_3 Depth=1
	v_mov_b64_e32 v[22:23], 0
	s_mov_b64 s[0:1], 0
	s_mov_b32 s12, 0
	s_mov_b64 s[4:5], 0
.LBB0_46:                               ;   Parent Loop BB0_3 Depth=1
                                        ; =>  This Inner Loop Header: Depth=2
	s_delay_alu instid0(SALU_CYCLE_1) | instskip(SKIP_1) | instid1(SALU_CYCLE_1)
	v_add_nc_u64_e32 v[26:27], s[4:5], v[24:25]
	s_add_nc_u64 s[4:5], s[4:5], 1
	v_cmp_eq_u32_e32 vcc_lo, s4, v0
	global_load_u8 v6, v[26:27], off
	s_wait_xcnt 0x0
	v_mov_b32_e32 v27, s6
	s_or_b32 s12, vcc_lo, s12
	s_wait_loadcnt 0x0
	v_and_b32_e32 v26, 0xffff, v6
	s_delay_alu instid0(VALU_DEP_1) | instskip(SKIP_1) | instid1(VALU_DEP_1)
	v_lshlrev_b64_e32 v[26:27], s0, v[26:27]
	s_add_nc_u64 s[0:1], s[0:1], 8
	v_or_b32_e32 v23, v27, v23
	s_delay_alu instid0(VALU_DEP_2)
	v_or_b32_e32 v22, v26, v22
	s_and_not1_b32 exec_lo, exec_lo, s12
	s_cbranch_execnz .LBB0_46
; %bb.47:                               ;   in Loop: Header=BB0_3 Depth=1
	s_or_b32 exec_lo, exec_lo, s12
.LBB0_48:                               ;   in Loop: Header=BB0_3 Depth=1
	s_delay_alu instid0(SALU_CYCLE_1)
	s_or_b32 exec_lo, exec_lo, s11
	v_mov_b64_e32 v[26:27], v[24:25]
                                        ; implicit-def: $vgpr0
.LBB0_49:                               ;   in Loop: Header=BB0_3 Depth=1
	s_or_saveexec_b32 s0, s10
	v_mov_b32_e32 v6, 0
	s_xor_b32 exec_lo, exec_lo, s0
	s_cbranch_execz .LBB0_51
; %bb.50:                               ;   in Loop: Header=BB0_3 Depth=1
	global_load_b64 v[22:23], v[24:25], off
	v_add_nc_u32_e32 v6, -8, v0
.LBB0_51:                               ;   in Loop: Header=BB0_3 Depth=1
	s_wait_xcnt 0x0
	s_or_b32 exec_lo, exec_lo, s0
	s_delay_alu instid0(SALU_CYCLE_1) | instskip(NEXT) | instid1(VALU_DEP_1)
	s_mov_b32 s0, exec_lo
	v_cmpx_gt_u32_e32 8, v6
	s_xor_b32 s4, exec_lo, s0
	s_cbranch_execz .LBB0_57
; %bb.52:                               ;   in Loop: Header=BB0_3 Depth=1
	v_mov_b64_e32 v[24:25], 0
	s_mov_b32 s5, exec_lo
	v_cmpx_ne_u32_e32 0, v6
	s_cbranch_execz .LBB0_56
; %bb.53:                               ;   in Loop: Header=BB0_3 Depth=1
	v_mov_b64_e32 v[24:25], 0
	s_mov_b64 s[0:1], 0
	s_mov_b32 s10, 0
.LBB0_54:                               ;   Parent Loop BB0_3 Depth=1
                                        ; =>  This Inner Loop Header: Depth=2
	global_load_u8 v0, v[26:27], off
	v_dual_mov_b32 v29, s6 :: v_dual_add_nc_u32 v6, -1, v6
	s_wait_xcnt 0x0
	v_add_nc_u64_e32 v[26:27], 1, v[26:27]
	s_delay_alu instid0(VALU_DEP_2) | instskip(SKIP_3) | instid1(VALU_DEP_1)
	v_cmp_eq_u32_e32 vcc_lo, 0, v6
	s_or_b32 s10, vcc_lo, s10
	s_wait_loadcnt 0x0
	v_and_b32_e32 v28, 0xffff, v0
	v_lshlrev_b64_e32 v[28:29], s0, v[28:29]
	s_add_nc_u64 s[0:1], s[0:1], 8
	s_delay_alu instid0(VALU_DEP_1) | instskip(NEXT) | instid1(VALU_DEP_2)
	v_or_b32_e32 v25, v29, v25
	v_or_b32_e32 v24, v28, v24
	s_and_not1_b32 exec_lo, exec_lo, s10
	s_cbranch_execnz .LBB0_54
; %bb.55:                               ;   in Loop: Header=BB0_3 Depth=1
	s_or_b32 exec_lo, exec_lo, s10
.LBB0_56:                               ;   in Loop: Header=BB0_3 Depth=1
	s_delay_alu instid0(SALU_CYCLE_1)
	s_or_b32 exec_lo, exec_lo, s5
                                        ; implicit-def: $vgpr26_vgpr27
.LBB0_57:                               ;   in Loop: Header=BB0_3 Depth=1
	s_and_not1_saveexec_b32 s0, s4
	s_cbranch_execz .LBB0_59
; %bb.58:                               ;   in Loop: Header=BB0_3 Depth=1
	global_load_b64 v[24:25], v[26:27], off
.LBB0_59:                               ;   in Loop: Header=BB0_3 Depth=1
	s_wait_xcnt 0x0
	s_or_b32 exec_lo, exec_lo, s0
	v_readfirstlane_b32 s0, v30
	v_mov_b64_e32 v[36:37], 0
	s_delay_alu instid0(VALU_DEP_2)
	v_cmp_eq_u32_e64 s0, s0, v30
	s_and_saveexec_b32 s1, s0
	s_cbranch_execz .LBB0_65
; %bb.60:                               ;   in Loop: Header=BB0_3 Depth=1
	s_wait_kmcnt 0x0
	global_load_b64 v[28:29], v7, s[2:3] offset:24 scope:SCOPE_SYS
	s_wait_loadcnt 0x0
	global_inv scope:SCOPE_SYS
	s_clause 0x1
	global_load_b64 v[26:27], v7, s[2:3] offset:40
	global_load_b64 v[36:37], v7, s[2:3]
	s_mov_b32 s4, exec_lo
	s_wait_loadcnt 0x1
	v_and_b32_e32 v26, v26, v28
	v_and_b32_e32 v27, v27, v29
	s_delay_alu instid0(VALU_DEP_1) | instskip(SKIP_1) | instid1(VALU_DEP_1)
	v_mul_u64_e32 v[26:27], 24, v[26:27]
	s_wait_loadcnt 0x0
	v_add_nc_u64_e32 v[26:27], v[36:37], v[26:27]
	global_load_b64 v[26:27], v[26:27], off scope:SCOPE_SYS
	s_wait_xcnt 0x0
	s_wait_loadcnt 0x0
	global_atomic_cmpswap_b64 v[36:37], v7, v[26:29], s[2:3] offset:24 th:TH_ATOMIC_RETURN scope:SCOPE_SYS
	s_wait_loadcnt 0x0
	global_inv scope:SCOPE_SYS
	s_wait_xcnt 0x0
	v_cmpx_ne_u64_e64 v[36:37], v[28:29]
	s_cbranch_execz .LBB0_64
; %bb.61:                               ;   in Loop: Header=BB0_3 Depth=1
	s_mov_b32 s5, 0
.LBB0_62:                               ;   Parent Loop BB0_3 Depth=1
                                        ; =>  This Inner Loop Header: Depth=2
	s_sleep 1
	s_clause 0x1
	global_load_b64 v[26:27], v7, s[2:3] offset:40
	global_load_b64 v[38:39], v7, s[2:3]
	v_mov_b64_e32 v[28:29], v[36:37]
	s_wait_loadcnt 0x1
	s_delay_alu instid0(VALU_DEP_1) | instskip(SKIP_1) | instid1(VALU_DEP_1)
	v_and_b32_e32 v0, v26, v28
	s_wait_loadcnt 0x0
	v_mad_nc_u64_u32 v[36:37], v0, 24, v[38:39]
	s_delay_alu instid0(VALU_DEP_3) | instskip(NEXT) | instid1(VALU_DEP_1)
	v_and_b32_e32 v0, v27, v29
	v_mad_u32 v37, v0, 24, v37
	global_load_b64 v[26:27], v[36:37], off scope:SCOPE_SYS
	s_wait_xcnt 0x0
	s_wait_loadcnt 0x0
	global_atomic_cmpswap_b64 v[36:37], v7, v[26:29], s[2:3] offset:24 th:TH_ATOMIC_RETURN scope:SCOPE_SYS
	s_wait_loadcnt 0x0
	global_inv scope:SCOPE_SYS
	v_cmp_eq_u64_e32 vcc_lo, v[36:37], v[28:29]
	s_or_b32 s5, vcc_lo, s5
	s_wait_xcnt 0x0
	s_and_not1_b32 exec_lo, exec_lo, s5
	s_cbranch_execnz .LBB0_62
; %bb.63:                               ;   in Loop: Header=BB0_3 Depth=1
	s_or_b32 exec_lo, exec_lo, s5
.LBB0_64:                               ;   in Loop: Header=BB0_3 Depth=1
	s_delay_alu instid0(SALU_CYCLE_1)
	s_or_b32 exec_lo, exec_lo, s4
.LBB0_65:                               ;   in Loop: Header=BB0_3 Depth=1
	s_delay_alu instid0(SALU_CYCLE_1)
	s_or_b32 exec_lo, exec_lo, s1
	s_wait_kmcnt 0x0
	s_clause 0x1
	global_load_b64 v[38:39], v7, s[2:3] offset:40
	global_load_b128 v[26:29], v7, s[2:3]
	v_readfirstlane_b32 s4, v36
	v_readfirstlane_b32 s5, v37
	s_mov_b32 s1, exec_lo
	s_wait_loadcnt 0x1
	v_and_b32_e32 v38, s4, v38
	v_and_b32_e32 v39, s5, v39
	s_delay_alu instid0(VALU_DEP_1) | instskip(SKIP_1) | instid1(VALU_DEP_1)
	v_mul_u64_e32 v[36:37], 24, v[38:39]
	s_wait_loadcnt 0x0
	v_add_nc_u64_e32 v[36:37], v[26:27], v[36:37]
	s_wait_xcnt 0x0
	s_and_saveexec_b32 s10, s0
	s_cbranch_execz .LBB0_67
; %bb.66:                               ;   in Loop: Header=BB0_3 Depth=1
	v_mov_b32_e32 v6, s1
	global_store_b128 v[36:37], v[6:9], off offset:8
.LBB0_67:                               ;   in Loop: Header=BB0_3 Depth=1
	s_wait_xcnt 0x0
	s_or_b32 exec_lo, exec_lo, s10
	v_cmp_gt_u64_e32 vcc_lo, 57, v[4:5]
	v_lshlrev_b64_e32 v[38:39], 12, v[38:39]
	v_and_b32_e32 v6, 0xffffff1f, v10
	v_lshl_add_u32 v10, v34, 2, 28
	v_cndmask_b32_e32 v0, 0, v2, vcc_lo
	s_delay_alu instid0(VALU_DEP_4) | instskip(NEXT) | instid1(VALU_DEP_2)
	v_add_nc_u64_e32 v[28:29], v[28:29], v[38:39]
	v_dual_lshlrev_b32 v6, 6, v30 :: v_dual_bitop2_b32 v0, v6, v0 bitop3:0x54
	s_delay_alu instid0(VALU_DEP_2) | instskip(NEXT) | instid1(VALU_DEP_3)
	v_readfirstlane_b32 s10, v28
	v_readfirstlane_b32 s11, v29
	s_delay_alu instid0(VALU_DEP_3)
	v_and_or_b32 v10, 0x1e0, v10, v0
	s_clause 0x3
	global_store_b128 v6, v[10:13], s[10:11]
	global_store_b128 v6, v[14:17], s[10:11] offset:16
	global_store_b128 v6, v[18:21], s[10:11] offset:32
	;; [unrolled: 1-line block ×3, first 2 shown]
	s_wait_xcnt 0x0
	s_and_saveexec_b32 s1, s0
	s_cbranch_execz .LBB0_75
; %bb.68:                               ;   in Loop: Header=BB0_3 Depth=1
	s_clause 0x1
	global_load_b64 v[18:19], v7, s[2:3] offset:32 scope:SCOPE_SYS
	global_load_b64 v[10:11], v7, s[2:3] offset:40
	s_mov_b32 s10, exec_lo
	v_dual_mov_b32 v16, s4 :: v_dual_mov_b32 v17, s5
	s_wait_loadcnt 0x0
	v_and_b32_e32 v11, s5, v11
	v_and_b32_e32 v10, s4, v10
	s_delay_alu instid0(VALU_DEP_1) | instskip(NEXT) | instid1(VALU_DEP_1)
	v_mul_u64_e32 v[10:11], 24, v[10:11]
	v_add_nc_u64_e32 v[14:15], v[26:27], v[10:11]
	global_store_b64 v[14:15], v[18:19], off
	global_wb scope:SCOPE_SYS
	s_wait_storecnt 0x0
	s_wait_xcnt 0x0
	global_atomic_cmpswap_b64 v[12:13], v7, v[16:19], s[2:3] offset:32 th:TH_ATOMIC_RETURN scope:SCOPE_SYS
	s_wait_loadcnt 0x0
	v_cmpx_ne_u64_e64 v[12:13], v[18:19]
	s_cbranch_execz .LBB0_71
; %bb.69:                               ;   in Loop: Header=BB0_3 Depth=1
	s_mov_b32 s11, 0
.LBB0_70:                               ;   Parent Loop BB0_3 Depth=1
                                        ; =>  This Inner Loop Header: Depth=2
	v_dual_mov_b32 v10, s4 :: v_dual_mov_b32 v11, s5
	s_sleep 1
	global_store_b64 v[14:15], v[12:13], off
	global_wb scope:SCOPE_SYS
	s_wait_storecnt 0x0
	s_wait_xcnt 0x0
	global_atomic_cmpswap_b64 v[10:11], v7, v[10:13], s[2:3] offset:32 th:TH_ATOMIC_RETURN scope:SCOPE_SYS
	s_wait_loadcnt 0x0
	v_cmp_eq_u64_e32 vcc_lo, v[10:11], v[12:13]
	v_mov_b64_e32 v[12:13], v[10:11]
	s_or_b32 s11, vcc_lo, s11
	s_delay_alu instid0(SALU_CYCLE_1)
	s_and_not1_b32 exec_lo, exec_lo, s11
	s_cbranch_execnz .LBB0_70
.LBB0_71:                               ;   in Loop: Header=BB0_3 Depth=1
	s_or_b32 exec_lo, exec_lo, s10
	global_load_b64 v[10:11], v7, s[2:3] offset:16
	s_mov_b32 s11, exec_lo
	s_mov_b32 s10, exec_lo
	v_mbcnt_lo_u32_b32 v0, s11, 0
	s_wait_xcnt 0x0
	s_delay_alu instid0(VALU_DEP_1)
	v_cmpx_eq_u32_e32 0, v0
	s_cbranch_execz .LBB0_73
; %bb.72:                               ;   in Loop: Header=BB0_3 Depth=1
	s_bcnt1_i32_b32 s11, s11
	s_delay_alu instid0(SALU_CYCLE_1)
	v_dual_mov_b32 v13, v7 :: v_dual_mov_b32 v12, s11
	global_wb scope:SCOPE_SYS
	s_wait_loadcnt 0x0
	s_wait_storecnt 0x0
	global_atomic_add_u64 v[10:11], v[12:13], off offset:8 scope:SCOPE_SYS
.LBB0_73:                               ;   in Loop: Header=BB0_3 Depth=1
	s_wait_xcnt 0x0
	s_or_b32 exec_lo, exec_lo, s10
	s_wait_loadcnt 0x0
	global_load_b64 v[12:13], v[10:11], off offset:16
	s_wait_loadcnt 0x0
	v_cmp_eq_u64_e32 vcc_lo, 0, v[12:13]
	s_cbranch_vccnz .LBB0_75
; %bb.74:                               ;   in Loop: Header=BB0_3 Depth=1
	global_load_b32 v10, v[10:11], off offset:24
	s_wait_xcnt 0x0
	v_mov_b32_e32 v11, v7
	s_wait_loadcnt 0x0
	v_readfirstlane_b32 s10, v10
	global_wb scope:SCOPE_SYS
	s_wait_storecnt 0x0
	global_store_b64 v[12:13], v[10:11], off scope:SCOPE_SYS
	s_and_b32 m0, s10, 0xffffff
	s_sendmsg sendmsg(MSG_INTERRUPT)
.LBB0_75:                               ;   in Loop: Header=BB0_3 Depth=1
	s_wait_xcnt 0x0
	s_or_b32 exec_lo, exec_lo, s1
	v_add_nc_u64_e32 v[10:11], v[28:29], v[6:7]
	s_branch .LBB0_79
.LBB0_76:                               ;   in Loop: Header=BB0_79 Depth=2
	s_wait_xcnt 0x0
	s_or_b32 exec_lo, exec_lo, s1
	s_delay_alu instid0(VALU_DEP_1)
	v_readfirstlane_b32 s1, v0
	s_cmp_eq_u32 s1, 0
	s_cbranch_scc1 .LBB0_78
; %bb.77:                               ;   in Loop: Header=BB0_79 Depth=2
	s_sleep 1
	s_cbranch_execnz .LBB0_79
	s_branch .LBB0_81
.LBB0_78:                               ;   in Loop: Header=BB0_3 Depth=1
	s_branch .LBB0_81
.LBB0_79:                               ;   Parent Loop BB0_3 Depth=1
                                        ; =>  This Inner Loop Header: Depth=2
	v_mov_b32_e32 v0, 1
	s_and_saveexec_b32 s1, s0
	s_cbranch_execz .LBB0_76
; %bb.80:                               ;   in Loop: Header=BB0_79 Depth=2
	global_load_b32 v0, v[36:37], off offset:20 scope:SCOPE_SYS
	s_wait_loadcnt 0x0
	global_inv scope:SCOPE_SYS
	v_and_b32_e32 v0, 1, v0
	s_branch .LBB0_76
.LBB0_81:                               ;   in Loop: Header=BB0_3 Depth=1
	global_load_b128 v[10:13], v[10:11], off
	s_wait_xcnt 0x0
	s_and_saveexec_b32 s10, s0
	s_cbranch_execz .LBB0_2
; %bb.82:                               ;   in Loop: Header=BB0_3 Depth=1
	s_wait_loadcnt 0x0
	s_clause 0x2
	global_load_b64 v[12:13], v7, s[2:3] offset:40
	global_load_b64 v[20:21], v7, s[2:3] offset:24 scope:SCOPE_SYS
	global_load_b64 v[14:15], v7, s[2:3]
	s_wait_loadcnt 0x2
	v_readfirstlane_b32 s12, v12
	v_readfirstlane_b32 s13, v13
	s_add_nc_u64 s[0:1], s[12:13], 1
	s_delay_alu instid0(SALU_CYCLE_1) | instskip(NEXT) | instid1(SALU_CYCLE_1)
	s_add_nc_u64 s[4:5], s[0:1], s[4:5]
	s_cmp_eq_u64 s[4:5], 0
	s_cselect_b32 s1, s1, s5
	s_cselect_b32 s0, s0, s4
	s_delay_alu instid0(SALU_CYCLE_1) | instskip(SKIP_1) | instid1(SALU_CYCLE_1)
	v_dual_mov_b32 v19, s1 :: v_dual_mov_b32 v18, s0
	s_and_b64 s[4:5], s[0:1], s[12:13]
	s_mul_u64 s[4:5], s[4:5], 24
	s_wait_loadcnt 0x0
	v_add_nc_u64_e32 v[16:17], s[4:5], v[14:15]
	global_store_b64 v[16:17], v[20:21], off
	global_wb scope:SCOPE_SYS
	s_wait_storecnt 0x0
	s_wait_xcnt 0x0
	global_atomic_cmpswap_b64 v[14:15], v7, v[18:21], s[2:3] offset:24 th:TH_ATOMIC_RETURN scope:SCOPE_SYS
	s_wait_loadcnt 0x0
	v_cmp_ne_u64_e32 vcc_lo, v[14:15], v[20:21]
	s_and_b32 exec_lo, exec_lo, vcc_lo
	s_cbranch_execz .LBB0_2
; %bb.83:                               ;   in Loop: Header=BB0_3 Depth=1
	s_mov_b32 s4, 0
.LBB0_84:                               ;   Parent Loop BB0_3 Depth=1
                                        ; =>  This Inner Loop Header: Depth=2
	v_dual_mov_b32 v12, s0 :: v_dual_mov_b32 v13, s1
	s_sleep 1
	global_store_b64 v[16:17], v[14:15], off
	global_wb scope:SCOPE_SYS
	s_wait_storecnt 0x0
	s_wait_xcnt 0x0
	global_atomic_cmpswap_b64 v[12:13], v7, v[12:15], s[2:3] offset:24 th:TH_ATOMIC_RETURN scope:SCOPE_SYS
	s_wait_loadcnt 0x0
	v_cmp_eq_u64_e32 vcc_lo, v[12:13], v[14:15]
	v_mov_b64_e32 v[14:15], v[12:13]
	s_or_b32 s4, vcc_lo, s4
	s_delay_alu instid0(SALU_CYCLE_1)
	s_and_not1_b32 exec_lo, exec_lo, s4
	s_cbranch_execnz .LBB0_84
	s_branch .LBB0_2
.LBB0_85:
	s_or_b32 exec_lo, exec_lo, s7
	s_branch .LBB0_114
.LBB0_86:
	s_load_b64 s[2:3], s[8:9], 0x50
	v_readfirstlane_b32 s0, v30
	v_mov_b64_e32 v[8:9], 0
	s_delay_alu instid0(VALU_DEP_2)
	v_cmp_eq_u32_e64 s0, s0, v30
	s_and_saveexec_b32 s1, s0
	s_cbranch_execz .LBB0_92
; %bb.87:
	v_mov_b32_e32 v0, 0
	s_mov_b32 s4, exec_lo
	s_wait_kmcnt 0x0
	global_load_b64 v[6:7], v0, s[2:3] offset:24 scope:SCOPE_SYS
	s_wait_loadcnt 0x0
	global_inv scope:SCOPE_SYS
	s_clause 0x1
	global_load_b64 v[4:5], v0, s[2:3] offset:40
	global_load_b64 v[8:9], v0, s[2:3]
	s_wait_loadcnt 0x1
	v_and_b32_e32 v4, v4, v6
	v_and_b32_e32 v5, v5, v7
	s_delay_alu instid0(VALU_DEP_1) | instskip(SKIP_1) | instid1(VALU_DEP_1)
	v_mul_u64_e32 v[4:5], 24, v[4:5]
	s_wait_loadcnt 0x0
	v_add_nc_u64_e32 v[4:5], v[8:9], v[4:5]
	global_load_b64 v[4:5], v[4:5], off scope:SCOPE_SYS
	s_wait_xcnt 0x0
	s_wait_loadcnt 0x0
	global_atomic_cmpswap_b64 v[8:9], v0, v[4:7], s[2:3] offset:24 th:TH_ATOMIC_RETURN scope:SCOPE_SYS
	s_wait_loadcnt 0x0
	global_inv scope:SCOPE_SYS
	s_wait_xcnt 0x0
	v_cmpx_ne_u64_e64 v[8:9], v[6:7]
	s_cbranch_execz .LBB0_91
; %bb.88:
	s_mov_b32 s5, 0
.LBB0_89:                               ; =>This Inner Loop Header: Depth=1
	s_sleep 1
	s_clause 0x1
	global_load_b64 v[4:5], v0, s[2:3] offset:40
	global_load_b64 v[10:11], v0, s[2:3]
	v_mov_b64_e32 v[6:7], v[8:9]
	s_wait_loadcnt 0x1
	s_delay_alu instid0(VALU_DEP_1) | instskip(SKIP_1) | instid1(VALU_DEP_1)
	v_and_b32_e32 v2, v4, v6
	s_wait_loadcnt 0x0
	v_mad_nc_u64_u32 v[8:9], v2, 24, v[10:11]
	s_delay_alu instid0(VALU_DEP_3) | instskip(NEXT) | instid1(VALU_DEP_1)
	v_and_b32_e32 v2, v5, v7
	v_mad_u32 v9, v2, 24, v9
	global_load_b64 v[4:5], v[8:9], off scope:SCOPE_SYS
	s_wait_xcnt 0x0
	s_wait_loadcnt 0x0
	global_atomic_cmpswap_b64 v[8:9], v0, v[4:7], s[2:3] offset:24 th:TH_ATOMIC_RETURN scope:SCOPE_SYS
	s_wait_loadcnt 0x0
	global_inv scope:SCOPE_SYS
	v_cmp_eq_u64_e32 vcc_lo, v[8:9], v[6:7]
	s_or_b32 s5, vcc_lo, s5
	s_wait_xcnt 0x0
	s_and_not1_b32 exec_lo, exec_lo, s5
	s_cbranch_execnz .LBB0_89
; %bb.90:
	s_or_b32 exec_lo, exec_lo, s5
.LBB0_91:
	s_delay_alu instid0(SALU_CYCLE_1)
	s_or_b32 exec_lo, exec_lo, s4
.LBB0_92:
	s_delay_alu instid0(SALU_CYCLE_1)
	s_or_b32 exec_lo, exec_lo, s1
	v_readfirstlane_b32 s4, v8
	v_mov_b32_e32 v2, 0
	v_readfirstlane_b32 s5, v9
	s_mov_b32 s1, exec_lo
	s_wait_loadcnt 0x0
	s_wait_kmcnt 0x0
	s_clause 0x1
	global_load_b64 v[10:11], v2, s[2:3] offset:40
	global_load_b128 v[4:7], v2, s[2:3]
	s_wait_loadcnt 0x1
	v_and_b32_e32 v10, s4, v10
	v_and_b32_e32 v11, s5, v11
	s_delay_alu instid0(VALU_DEP_1) | instskip(SKIP_1) | instid1(VALU_DEP_1)
	v_mul_u64_e32 v[8:9], 24, v[10:11]
	s_wait_loadcnt 0x0
	v_add_nc_u64_e32 v[8:9], v[4:5], v[8:9]
	s_wait_xcnt 0x0
	s_and_saveexec_b32 s6, s0
	s_cbranch_execz .LBB0_94
; %bb.93:
	v_mov_b64_e32 v[14:15], 0x100000002
	v_dual_mov_b32 v12, s1 :: v_dual_mov_b32 v13, v2
	global_store_b128 v[8:9], v[12:15], off offset:8
.LBB0_94:
	s_wait_xcnt 0x0
	s_or_b32 exec_lo, exec_lo, s6
	v_lshlrev_b64_e32 v[10:11], 12, v[10:11]
	s_mov_b32 s8, 0
	v_and_or_b32 v0, 0xffffff1f, v3, 32
	s_mov_b32 s10, s8
	s_mov_b32 s11, s8
	;; [unrolled: 1-line block ×3, first 2 shown]
	v_dual_mov_b32 v3, v2 :: v_dual_lshlrev_b32 v14, 6, v30
	v_add_nc_u64_e32 v[6:7], v[6:7], v[10:11]
	v_mov_b64_e32 v[12:13], s[10:11]
	v_mov_b64_e32 v[10:11], s[8:9]
	s_delay_alu instid0(VALU_DEP_3) | instskip(NEXT) | instid1(VALU_DEP_4)
	v_readfirstlane_b32 s6, v6
	v_readfirstlane_b32 s7, v7
	s_clause 0x3
	global_store_b128 v14, v[0:3], s[6:7]
	global_store_b128 v14, v[10:13], s[6:7] offset:16
	global_store_b128 v14, v[10:13], s[6:7] offset:32
	;; [unrolled: 1-line block ×3, first 2 shown]
	s_wait_xcnt 0x0
	s_and_saveexec_b32 s1, s0
	s_cbranch_execz .LBB0_102
; %bb.95:
	v_dual_mov_b32 v6, 0 :: v_dual_mov_b32 v11, s5
	s_mov_b32 s6, exec_lo
	s_clause 0x1
	global_load_b64 v[12:13], v6, s[2:3] offset:32 scope:SCOPE_SYS
	global_load_b64 v[0:1], v6, s[2:3] offset:40
	s_wait_loadcnt 0x0
	v_dual_mov_b32 v10, s4 :: v_dual_bitop2_b32 v1, s5, v1 bitop3:0x40
	v_and_b32_e32 v0, s4, v0
	s_delay_alu instid0(VALU_DEP_1) | instskip(NEXT) | instid1(VALU_DEP_1)
	v_mul_u64_e32 v[0:1], 24, v[0:1]
	v_add_nc_u64_e32 v[4:5], v[4:5], v[0:1]
	global_store_b64 v[4:5], v[12:13], off
	global_wb scope:SCOPE_SYS
	s_wait_storecnt 0x0
	s_wait_xcnt 0x0
	global_atomic_cmpswap_b64 v[2:3], v6, v[10:13], s[2:3] offset:32 th:TH_ATOMIC_RETURN scope:SCOPE_SYS
	s_wait_loadcnt 0x0
	v_cmpx_ne_u64_e64 v[2:3], v[12:13]
	s_cbranch_execz .LBB0_98
; %bb.96:
	s_mov_b32 s7, 0
.LBB0_97:                               ; =>This Inner Loop Header: Depth=1
	v_dual_mov_b32 v0, s4 :: v_dual_mov_b32 v1, s5
	s_sleep 1
	global_store_b64 v[4:5], v[2:3], off
	global_wb scope:SCOPE_SYS
	s_wait_storecnt 0x0
	s_wait_xcnt 0x0
	global_atomic_cmpswap_b64 v[0:1], v6, v[0:3], s[2:3] offset:32 th:TH_ATOMIC_RETURN scope:SCOPE_SYS
	s_wait_loadcnt 0x0
	v_cmp_eq_u64_e32 vcc_lo, v[0:1], v[2:3]
	v_mov_b64_e32 v[2:3], v[0:1]
	s_or_b32 s7, vcc_lo, s7
	s_delay_alu instid0(SALU_CYCLE_1)
	s_and_not1_b32 exec_lo, exec_lo, s7
	s_cbranch_execnz .LBB0_97
.LBB0_98:
	s_or_b32 exec_lo, exec_lo, s6
	v_mov_b32_e32 v3, 0
	s_mov_b32 s7, exec_lo
	s_mov_b32 s6, exec_lo
	v_mbcnt_lo_u32_b32 v2, s7, 0
	global_load_b64 v[0:1], v3, s[2:3] offset:16
	s_wait_xcnt 0x0
	v_cmpx_eq_u32_e32 0, v2
	s_cbranch_execz .LBB0_100
; %bb.99:
	s_bcnt1_i32_b32 s7, s7
	s_delay_alu instid0(SALU_CYCLE_1)
	v_mov_b32_e32 v2, s7
	global_wb scope:SCOPE_SYS
	s_wait_loadcnt 0x0
	s_wait_storecnt 0x0
	global_atomic_add_u64 v[0:1], v[2:3], off offset:8 scope:SCOPE_SYS
.LBB0_100:
	s_wait_xcnt 0x0
	s_or_b32 exec_lo, exec_lo, s6
	s_wait_loadcnt 0x0
	global_load_b64 v[2:3], v[0:1], off offset:16
	s_wait_loadcnt 0x0
	v_cmp_eq_u64_e32 vcc_lo, 0, v[2:3]
	s_cbranch_vccnz .LBB0_102
; %bb.101:
	global_load_b32 v0, v[0:1], off offset:24
	s_wait_xcnt 0x0
	v_mov_b32_e32 v1, 0
	s_wait_loadcnt 0x0
	v_readfirstlane_b32 s6, v0
	global_wb scope:SCOPE_SYS
	s_wait_storecnt 0x0
	global_store_b64 v[2:3], v[0:1], off scope:SCOPE_SYS
	s_and_b32 m0, s6, 0xffffff
	s_sendmsg sendmsg(MSG_INTERRUPT)
.LBB0_102:
	s_wait_xcnt 0x0
	s_or_b32 exec_lo, exec_lo, s1
	s_branch .LBB0_106
.LBB0_103:                              ;   in Loop: Header=BB0_106 Depth=1
	s_wait_xcnt 0x0
	s_or_b32 exec_lo, exec_lo, s1
	s_delay_alu instid0(VALU_DEP_1)
	v_readfirstlane_b32 s1, v0
	s_cmp_eq_u32 s1, 0
	s_cbranch_scc1 .LBB0_105
; %bb.104:                              ;   in Loop: Header=BB0_106 Depth=1
	s_sleep 1
	s_cbranch_execnz .LBB0_106
	s_branch .LBB0_108
.LBB0_105:
	s_branch .LBB0_108
.LBB0_106:                              ; =>This Inner Loop Header: Depth=1
	v_mov_b32_e32 v0, 1
	s_and_saveexec_b32 s1, s0
	s_cbranch_execz .LBB0_103
; %bb.107:                              ;   in Loop: Header=BB0_106 Depth=1
	global_load_b32 v0, v[8:9], off offset:20 scope:SCOPE_SYS
	s_wait_loadcnt 0x0
	global_inv scope:SCOPE_SYS
	v_and_b32_e32 v0, 1, v0
	s_branch .LBB0_103
.LBB0_108:
	s_and_saveexec_b32 s6, s0
	s_cbranch_execz .LBB0_112
; %bb.109:
	v_mov_b32_e32 v6, 0
	s_clause 0x2
	global_load_b64 v[0:1], v6, s[2:3] offset:40
	global_load_b64 v[10:11], v6, s[2:3] offset:24 scope:SCOPE_SYS
	global_load_b64 v[2:3], v6, s[2:3]
	s_wait_loadcnt 0x2
	v_readfirstlane_b32 s8, v0
	v_readfirstlane_b32 s9, v1
	s_add_nc_u64 s[0:1], s[8:9], 1
	s_delay_alu instid0(SALU_CYCLE_1) | instskip(NEXT) | instid1(SALU_CYCLE_1)
	s_add_nc_u64 s[4:5], s[0:1], s[4:5]
	s_cmp_eq_u64 s[4:5], 0
	s_cselect_b32 s1, s1, s5
	s_cselect_b32 s0, s0, s4
	v_mov_b32_e32 v9, s1
	s_and_b64 s[4:5], s[0:1], s[8:9]
	v_mov_b32_e32 v8, s0
	s_mul_u64 s[4:5], s[4:5], 24
	s_wait_loadcnt 0x0
	v_add_nc_u64_e32 v[4:5], s[4:5], v[2:3]
	global_store_b64 v[4:5], v[10:11], off
	global_wb scope:SCOPE_SYS
	s_wait_storecnt 0x0
	s_wait_xcnt 0x0
	global_atomic_cmpswap_b64 v[2:3], v6, v[8:11], s[2:3] offset:24 th:TH_ATOMIC_RETURN scope:SCOPE_SYS
	s_wait_loadcnt 0x0
	v_cmp_ne_u64_e32 vcc_lo, v[2:3], v[10:11]
	s_and_b32 exec_lo, exec_lo, vcc_lo
	s_cbranch_execz .LBB0_112
; %bb.110:
	s_mov_b32 s4, 0
.LBB0_111:                              ; =>This Inner Loop Header: Depth=1
	v_dual_mov_b32 v0, s0 :: v_dual_mov_b32 v1, s1
	s_sleep 1
	global_store_b64 v[4:5], v[2:3], off
	global_wb scope:SCOPE_SYS
	s_wait_storecnt 0x0
	s_wait_xcnt 0x0
	global_atomic_cmpswap_b64 v[0:1], v6, v[0:3], s[2:3] offset:24 th:TH_ATOMIC_RETURN scope:SCOPE_SYS
	s_wait_loadcnt 0x0
	v_cmp_eq_u64_e32 vcc_lo, v[0:1], v[2:3]
	v_mov_b64_e32 v[2:3], v[0:1]
	s_or_b32 s4, vcc_lo, s4
	s_delay_alu instid0(SALU_CYCLE_1)
	s_and_not1_b32 exec_lo, exec_lo, s4
	s_cbranch_execnz .LBB0_111
.LBB0_112:
	s_or_b32 exec_lo, exec_lo, s6
	s_wait_loadcnt 0x0
	s_wait_kmcnt 0x0
	s_set_pc_i64 s[30:31]
.LBB0_113:
	s_cbranch_execnz .LBB0_86
.LBB0_114:
	s_wait_loadcnt 0x0
	s_wait_kmcnt 0x0
	s_set_pc_i64 s[30:31]
.Lfunc_end0:
	.size	__ockl_fprintf_append_string_n, .Lfunc_end0-__ockl_fprintf_append_string_n
                                        ; -- End function
	.set .L__ockl_fprintf_append_string_n.num_vgpr, 40
	.set .L__ockl_fprintf_append_string_n.num_agpr, 0
	.set .L__ockl_fprintf_append_string_n.numbered_sgpr, 32
	.set .L__ockl_fprintf_append_string_n.num_named_barrier, 0
	.set .L__ockl_fprintf_append_string_n.private_seg_size, 0
	.set .L__ockl_fprintf_append_string_n.uses_vcc, 1
	.set .L__ockl_fprintf_append_string_n.uses_flat_scratch, 0
	.set .L__ockl_fprintf_append_string_n.has_dyn_sized_stack, 0
	.set .L__ockl_fprintf_append_string_n.has_recursion, 0
	.set .L__ockl_fprintf_append_string_n.has_indirect_call, 0
	.section	.AMDGPU.csdata,"",@progbits
; Function info:
; codeLenInByte = 4324
; TotalNumSgprs: 34
; NumVgprs: 40
; ScratchSize: 0
; MemoryBound: 0
	.text
	.p2align	2                               ; -- Begin function __assert_fail
	.type	__assert_fail,@function
__assert_fail:                          ; @__assert_fail
; %bb.0:
	s_wait_loadcnt_dscnt 0x0
	s_wait_kmcnt 0x0
	s_mov_b32 s20, s33
	s_mov_b32 s33, s32
	s_or_saveexec_b32 s0, -1
	scratch_store_b32 off, v40, s33 offset:48 ; 4-byte Folded Spill
	s_wait_xcnt 0x0
	s_mov_b32 exec_lo, s0
	v_writelane_b32 v40, s30, 0
	s_add_co_i32 s32, s32, 64
	v_writelane_b32 v40, s31, 1
	v_mov_b32_e32 v8, 0
	s_get_pc_i64 s[0:1]
	s_add_nc_u64 s[0:1], s[0:1], __const.__assert_fail.fmt@rel64+35
	v_dual_mov_b32 v5, v1 :: v_dual_mov_b32 v4, v0
	s_get_pc_i64 s[10:11]
	s_add_nc_u64 s[10:11], s[10:11], __const.__assert_fail.fmt@rel64+20
	global_load_b128 v[0:3], v8, s[0:1]
	s_wait_xcnt 0x0
	s_get_pc_i64 s[0:1]
	s_add_nc_u64 s[0:1], s[0:1], __const.__assert_fail.fmt@rel64+4
	s_clause 0x1
	s_load_b128 s[4:7], s[0:1], 0x0
	s_load_b128 s[12:15], s[10:11], 0x0
	s_load_b64 s[2:3], s[8:9], 0x50
	v_mbcnt_lo_u32_b32 v48, -1, 0
	v_mov_b64_e32 v[6:7], 0
	s_wait_xcnt 0x0
	s_delay_alu instid0(VALU_DEP_2) | instskip(NEXT) | instid1(VALU_DEP_1)
	v_readfirstlane_b32 s0, v48
	v_cmp_eq_u32_e64 s0, s0, v48
	s_wait_kmcnt 0x0
	v_mov_b64_e32 v[12:13], s[6:7]
	v_mov_b64_e32 v[10:11], s[4:5]
	;; [unrolled: 1-line block ×4, first 2 shown]
	s_clause 0x1
	scratch_store_b128 off, v[10:13], s33
	scratch_store_b128 off, v[14:17], s33 offset:16
	s_wait_loadcnt 0x0
	scratch_store_b128 off, v[0:3], s33 offset:31
	s_wait_xcnt 0x0
	s_and_saveexec_b32 s1, s0
	s_cbranch_execz .LBB1_6
; %bb.1:
	global_load_b64 v[2:3], v8, s[2:3] offset:24 scope:SCOPE_SYS
	s_wait_loadcnt 0x0
	global_inv scope:SCOPE_SYS
	s_clause 0x1
	global_load_b64 v[0:1], v8, s[2:3] offset:40
	global_load_b64 v[6:7], v8, s[2:3]
	s_mov_b32 s4, exec_lo
	s_wait_loadcnt 0x1
	v_and_b32_e32 v0, v0, v2
	v_and_b32_e32 v1, v1, v3
	s_delay_alu instid0(VALU_DEP_1) | instskip(SKIP_1) | instid1(VALU_DEP_1)
	v_mul_u64_e32 v[0:1], 24, v[0:1]
	s_wait_loadcnt 0x0
	v_add_nc_u64_e32 v[0:1], v[6:7], v[0:1]
	global_load_b64 v[0:1], v[0:1], off scope:SCOPE_SYS
	s_wait_xcnt 0x0
	s_wait_loadcnt 0x0
	global_atomic_cmpswap_b64 v[6:7], v8, v[0:3], s[2:3] offset:24 th:TH_ATOMIC_RETURN scope:SCOPE_SYS
	s_wait_loadcnt 0x0
	global_inv scope:SCOPE_SYS
	s_wait_xcnt 0x0
	v_cmpx_ne_u64_e64 v[6:7], v[2:3]
	s_cbranch_execz .LBB1_5
; %bb.2:
	v_mov_b32_e32 v0, 0
	s_mov_b32 s5, 0
.LBB1_3:                                ; =>This Inner Loop Header: Depth=1
	s_sleep 1
	s_clause 0x1
	global_load_b64 v[2:3], v0, s[2:3] offset:40
	global_load_b64 v[10:11], v0, s[2:3]
	v_mov_b64_e32 v[12:13], v[6:7]
	s_wait_loadcnt 0x1
	s_delay_alu instid0(VALU_DEP_1) | instskip(SKIP_1) | instid1(VALU_DEP_1)
	v_and_b32_e32 v1, v2, v12
	s_wait_loadcnt 0x0
	v_mad_nc_u64_u32 v[6:7], v1, 24, v[10:11]
	s_delay_alu instid0(VALU_DEP_3) | instskip(NEXT) | instid1(VALU_DEP_1)
	v_and_b32_e32 v1, v3, v13
	v_mad_u32 v7, v1, 24, v7
	global_load_b64 v[10:11], v[6:7], off scope:SCOPE_SYS
	s_wait_xcnt 0x0
	s_wait_loadcnt 0x0
	global_atomic_cmpswap_b64 v[6:7], v0, v[10:13], s[2:3] offset:24 th:TH_ATOMIC_RETURN scope:SCOPE_SYS
	s_wait_loadcnt 0x0
	global_inv scope:SCOPE_SYS
	v_cmp_eq_u64_e32 vcc_lo, v[6:7], v[12:13]
	s_or_b32 s5, vcc_lo, s5
	s_wait_xcnt 0x0
	s_and_not1_b32 exec_lo, exec_lo, s5
	s_cbranch_execnz .LBB1_3
; %bb.4:
	s_or_b32 exec_lo, exec_lo, s5
.LBB1_5:
	s_delay_alu instid0(SALU_CYCLE_1)
	s_or_b32 exec_lo, exec_lo, s4
.LBB1_6:
	s_delay_alu instid0(SALU_CYCLE_1)
	s_or_b32 exec_lo, exec_lo, s1
	s_clause 0x1
	global_load_b64 v[10:11], v8, s[2:3] offset:40
	global_load_b128 v[0:3], v8, s[2:3]
	v_readfirstlane_b32 s4, v6
	v_readfirstlane_b32 s5, v7
	s_mov_b32 s1, exec_lo
	s_wait_loadcnt 0x1
	s_wait_xcnt 0x0
	v_and_b32_e32 v8, s4, v10
	v_and_b32_e32 v9, s5, v11
	s_delay_alu instid0(VALU_DEP_1) | instskip(SKIP_1) | instid1(VALU_DEP_1)
	v_mul_u64_e32 v[6:7], 24, v[8:9]
	s_wait_loadcnt 0x0
	v_add_nc_u64_e32 v[6:7], v[0:1], v[6:7]
	s_and_saveexec_b32 s6, s0
	s_cbranch_execz .LBB1_8
; %bb.7:
	v_mov_b64_e32 v[12:13], 0x100000002
	v_dual_mov_b32 v10, s1 :: v_dual_mov_b32 v11, 0
	global_store_b128 v[6:7], v[10:13], off offset:8
.LBB1_8:
	s_wait_xcnt 0x0
	s_or_b32 exec_lo, exec_lo, s6
	v_lshlrev_b64_e32 v[8:9], 12, v[8:9]
	s_mov_b32 s12, 0
	v_dual_mov_b32 v31, 0 :: v_dual_lshlrev_b32 v30, 6, v48
	s_mov_b32 s14, s12
	s_mov_b32 s15, s12
	;; [unrolled: 1-line block ×3, first 2 shown]
	s_delay_alu instid0(VALU_DEP_2)
	v_add_nc_u64_e32 v[8:9], v[2:3], v[8:9]
	v_mov_b64_e32 v[16:17], s[14:15]
	v_mov_b64_e32 v[14:15], s[12:13]
	v_dual_mov_b32 v10, 33 :: v_dual_mov_b32 v12, 1
	v_dual_mov_b32 v11, v31 :: v_dual_mov_b32 v13, v31
	v_readfirstlane_b32 s6, v8
	v_readfirstlane_b32 s7, v9
	s_clause 0x3
	global_store_b128 v30, v[10:13], s[6:7]
	global_store_b128 v30, v[14:17], s[6:7] offset:16
	global_store_b128 v30, v[14:17], s[6:7] offset:32
	;; [unrolled: 1-line block ×3, first 2 shown]
	s_wait_xcnt 0x0
	s_and_saveexec_b32 s1, s0
	s_cbranch_execz .LBB1_16
; %bb.9:
	s_clause 0x1
	global_load_b64 v[14:15], v31, s[2:3] offset:32 scope:SCOPE_SYS
	global_load_b64 v[2:3], v31, s[2:3] offset:40
	s_mov_b32 s6, exec_lo
	v_dual_mov_b32 v12, s4 :: v_dual_mov_b32 v13, s5
	s_wait_loadcnt 0x0
	v_and_b32_e32 v3, s5, v3
	v_and_b32_e32 v2, s4, v2
	s_delay_alu instid0(VALU_DEP_1) | instskip(NEXT) | instid1(VALU_DEP_1)
	v_mul_u64_e32 v[2:3], 24, v[2:3]
	v_add_nc_u64_e32 v[10:11], v[0:1], v[2:3]
	global_store_b64 v[10:11], v[14:15], off
	global_wb scope:SCOPE_SYS
	s_wait_storecnt 0x0
	s_wait_xcnt 0x0
	global_atomic_cmpswap_b64 v[2:3], v31, v[12:15], s[2:3] offset:32 th:TH_ATOMIC_RETURN scope:SCOPE_SYS
	s_wait_loadcnt 0x0
	v_cmpx_ne_u64_e64 v[2:3], v[14:15]
	s_cbranch_execz .LBB1_12
; %bb.10:
	v_mov_b32_e32 v12, 0
	s_mov_b32 s7, 0
.LBB1_11:                               ; =>This Inner Loop Header: Depth=1
	v_dual_mov_b32 v0, s4 :: v_dual_mov_b32 v1, s5
	s_sleep 1
	global_store_b64 v[10:11], v[2:3], off
	global_wb scope:SCOPE_SYS
	s_wait_storecnt 0x0
	s_wait_xcnt 0x0
	global_atomic_cmpswap_b64 v[0:1], v12, v[0:3], s[2:3] offset:32 th:TH_ATOMIC_RETURN scope:SCOPE_SYS
	s_wait_loadcnt 0x0
	v_cmp_eq_u64_e32 vcc_lo, v[0:1], v[2:3]
	v_mov_b64_e32 v[2:3], v[0:1]
	s_or_b32 s7, vcc_lo, s7
	s_delay_alu instid0(SALU_CYCLE_1)
	s_and_not1_b32 exec_lo, exec_lo, s7
	s_cbranch_execnz .LBB1_11
.LBB1_12:
	s_or_b32 exec_lo, exec_lo, s6
	v_mov_b32_e32 v3, 0
	s_mov_b32 s7, exec_lo
	s_mov_b32 s6, exec_lo
	v_mbcnt_lo_u32_b32 v2, s7, 0
	global_load_b64 v[0:1], v3, s[2:3] offset:16
	s_wait_xcnt 0x0
	v_cmpx_eq_u32_e32 0, v2
	s_cbranch_execz .LBB1_14
; %bb.13:
	s_bcnt1_i32_b32 s7, s7
	s_delay_alu instid0(SALU_CYCLE_1)
	v_mov_b32_e32 v2, s7
	global_wb scope:SCOPE_SYS
	s_wait_loadcnt 0x0
	s_wait_storecnt 0x0
	global_atomic_add_u64 v[0:1], v[2:3], off offset:8 scope:SCOPE_SYS
.LBB1_14:
	s_wait_xcnt 0x0
	s_or_b32 exec_lo, exec_lo, s6
	s_wait_loadcnt 0x0
	global_load_b64 v[2:3], v[0:1], off offset:16
	s_wait_loadcnt 0x0
	v_cmp_eq_u64_e32 vcc_lo, 0, v[2:3]
	s_cbranch_vccnz .LBB1_16
; %bb.15:
	global_load_b32 v0, v[0:1], off offset:24
	s_wait_xcnt 0x0
	v_mov_b32_e32 v1, 0
	s_wait_loadcnt 0x0
	v_readfirstlane_b32 s6, v0
	global_wb scope:SCOPE_SYS
	s_wait_storecnt 0x0
	global_store_b64 v[2:3], v[0:1], off scope:SCOPE_SYS
	s_and_b32 m0, s6, 0xffffff
	s_sendmsg sendmsg(MSG_INTERRUPT)
.LBB1_16:
	s_wait_xcnt 0x0
	s_or_b32 exec_lo, exec_lo, s1
	v_add_nc_u64_e32 v[0:1], v[8:9], v[30:31]
	s_branch .LBB1_20
.LBB1_17:                               ;   in Loop: Header=BB1_20 Depth=1
	s_wait_xcnt 0x0
	s_or_b32 exec_lo, exec_lo, s1
	s_delay_alu instid0(VALU_DEP_1)
	v_readfirstlane_b32 s1, v2
	s_cmp_eq_u32 s1, 0
	s_cbranch_scc1 .LBB1_19
; %bb.18:                               ;   in Loop: Header=BB1_20 Depth=1
	s_sleep 1
	s_cbranch_execnz .LBB1_20
	s_branch .LBB1_22
.LBB1_19:
	s_branch .LBB1_22
.LBB1_20:                               ; =>This Inner Loop Header: Depth=1
	v_mov_b32_e32 v2, 1
	s_and_saveexec_b32 s1, s0
	s_cbranch_execz .LBB1_17
; %bb.21:                               ;   in Loop: Header=BB1_20 Depth=1
	global_load_b32 v2, v[6:7], off offset:20 scope:SCOPE_SYS
	s_wait_loadcnt 0x0
	global_inv scope:SCOPE_SYS
	v_and_b32_e32 v2, 1, v2
	s_branch .LBB1_17
.LBB1_22:
	global_load_b64 v[6:7], v[0:1], off
	s_wait_xcnt 0x0
	s_and_saveexec_b32 s6, s0
	s_cbranch_execz .LBB1_26
; %bb.23:
	v_mov_b32_e32 v10, 0
	s_clause 0x2
	global_load_b64 v[0:1], v10, s[2:3] offset:40
	global_load_b64 v[14:15], v10, s[2:3] offset:24 scope:SCOPE_SYS
	global_load_b64 v[2:3], v10, s[2:3]
	s_wait_loadcnt 0x2
	v_readfirstlane_b32 s10, v0
	v_readfirstlane_b32 s11, v1
	s_add_nc_u64 s[0:1], s[10:11], 1
	s_delay_alu instid0(SALU_CYCLE_1) | instskip(NEXT) | instid1(SALU_CYCLE_1)
	s_add_nc_u64 s[4:5], s[0:1], s[4:5]
	s_cmp_eq_u64 s[4:5], 0
	s_cselect_b32 s1, s1, s5
	s_cselect_b32 s0, s0, s4
	v_mov_b32_e32 v13, s1
	s_and_b64 s[4:5], s[0:1], s[10:11]
	v_mov_b32_e32 v12, s0
	s_mul_u64 s[4:5], s[4:5], 24
	s_wait_loadcnt 0x0
	v_add_nc_u64_e32 v[8:9], s[4:5], v[2:3]
	global_store_b64 v[8:9], v[14:15], off
	global_wb scope:SCOPE_SYS
	s_wait_storecnt 0x0
	s_wait_xcnt 0x0
	global_atomic_cmpswap_b64 v[2:3], v10, v[12:15], s[2:3] offset:24 th:TH_ATOMIC_RETURN scope:SCOPE_SYS
	s_wait_loadcnt 0x0
	v_cmp_ne_u64_e32 vcc_lo, v[2:3], v[14:15]
	s_and_b32 exec_lo, exec_lo, vcc_lo
	s_cbranch_execz .LBB1_26
; %bb.24:
	s_mov_b32 s4, 0
.LBB1_25:                               ; =>This Inner Loop Header: Depth=1
	v_dual_mov_b32 v0, s0 :: v_dual_mov_b32 v1, s1
	s_sleep 1
	global_store_b64 v[8:9], v[2:3], off
	global_wb scope:SCOPE_SYS
	s_wait_storecnt 0x0
	s_wait_xcnt 0x0
	global_atomic_cmpswap_b64 v[0:1], v10, v[0:3], s[2:3] offset:24 th:TH_ATOMIC_RETURN scope:SCOPE_SYS
	s_wait_loadcnt 0x0
	v_cmp_eq_u64_e32 vcc_lo, v[0:1], v[2:3]
	v_mov_b64_e32 v[2:3], v[0:1]
	s_or_b32 s4, vcc_lo, s4
	s_delay_alu instid0(SALU_CYCLE_1)
	s_and_not1_b32 exec_lo, exec_lo, s4
	s_cbranch_execnz .LBB1_25
.LBB1_26:
	s_or_b32 exec_lo, exec_lo, s6
	s_mov_b32 s1, s33
	s_mov_b32 s0, 0
.LBB1_27:                               ; =>This Inner Loop Header: Depth=1
	scratch_load_u8 v0, off, s1
	s_wait_xcnt 0x0
	s_add_co_i32 s1, s1, 1
	s_wait_loadcnt 0x0
	v_cmp_eq_u16_e32 vcc_lo, 0, v0
	v_mov_b32_e32 v0, s1
	s_or_b32 s0, vcc_lo, s0
	s_delay_alu instid0(SALU_CYCLE_1)
	s_and_not1_b32 exec_lo, exec_lo, s0
	s_cbranch_execnz .LBB1_27
; %bb.28:
	s_or_b32 exec_lo, exec_lo, s0
	s_cmp_lg_u32 s33, -1
	s_cbranch_scc0 .LBB1_113
; %bb.29:
	s_mov_b64 s[0:1], src_flat_scratch_base_lo
	v_mov_b64_e32 v[10:11], 0x100000002
	v_dual_add_nc_u32 v0, s0, v0 :: v_dual_bitop2_b32 v28, 2, v6 bitop3:0x40
	s_add_co_i32 s0, s33, s0
	v_dual_mov_b32 v31, 0 :: v_dual_mov_b32 v29, s33
	s_delay_alu instid0(VALU_DEP_2) | instskip(SKIP_3) | instid1(VALU_DEP_2)
	v_subrev_nc_u32_e32 v32, s0, v0
	v_dual_mov_b32 v1, v7 :: v_dual_bitop2_b32 v0, -3, v6 bitop3:0x40
	s_mov_b32 s7, 0
	s_mov_b32 s6, 0
	v_ashrrev_i32_e32 v33, 31, v32
	s_branch .LBB1_31
.LBB1_30:                               ;   in Loop: Header=BB1_31 Depth=1
	s_or_b32 exec_lo, exec_lo, s10
	v_sub_nc_u64_e32 v[32:33], v[32:33], v[34:35]
	v_add_nc_u32_e32 v29, v29, v34
	s_delay_alu instid0(VALU_DEP_2) | instskip(SKIP_1) | instid1(SALU_CYCLE_1)
	v_cmp_eq_u64_e32 vcc_lo, 0, v[32:33]
	s_or_b32 s6, vcc_lo, s6
	s_and_not1_b32 exec_lo, exec_lo, s6
	s_cbranch_execz .LBB1_192
.LBB1_31:                               ; =>This Loop Header: Depth=1
                                        ;     Child Loop BB1_34 Depth 2
                                        ;     Child Loop BB1_42 Depth 2
	;; [unrolled: 1-line block ×11, first 2 shown]
	s_delay_alu instid0(VALU_DEP_1)
	v_min_u64 v[34:35], v[32:33], 56
	v_add_nc_u32_e32 v9, 8, v29
	s_mov_b32 s0, exec_lo
	v_cmpx_gt_u64_e32 8, v[32:33]
	s_xor_b32 s4, exec_lo, s0
	s_cbranch_execz .LBB1_37
; %bb.32:                               ;   in Loop: Header=BB1_31 Depth=1
	v_mov_b64_e32 v[2:3], 0
	s_mov_b32 s5, exec_lo
	v_cmpx_ne_u64_e32 0, v[32:33]
	s_cbranch_execz .LBB1_36
; %bb.33:                               ;   in Loop: Header=BB1_31 Depth=1
	v_mov_b64_e32 v[2:3], 0
	v_dual_mov_b32 v9, v29 :: v_dual_lshlrev_b32 v8, 3, v34
	s_mov_b64 s[0:1], 0
	s_mov_b32 s10, 0
.LBB1_34:                               ;   Parent Loop BB1_31 Depth=1
                                        ; =>  This Inner Loop Header: Depth=2
	scratch_load_u8 v12, v9, off
	s_wait_xcnt 0x0
	v_dual_mov_b32 v13, s7 :: v_dual_add_nc_u32 v9, 1, v9
	s_wait_loadcnt 0x0
	v_and_b32_e32 v12, 0xffff, v12
	s_delay_alu instid0(VALU_DEP_1) | instskip(SKIP_1) | instid1(SALU_CYCLE_1)
	v_lshlrev_b64_e32 v[12:13], s0, v[12:13]
	s_add_nc_u64 s[0:1], s[0:1], 8
	v_cmp_eq_u32_e32 vcc_lo, s0, v8
	s_delay_alu instid0(VALU_DEP_2) | instskip(NEXT) | instid1(VALU_DEP_3)
	v_or_b32_e32 v3, v13, v3
	v_or_b32_e32 v2, v12, v2
	s_or_b32 s10, vcc_lo, s10
	s_delay_alu instid0(SALU_CYCLE_1)
	s_and_not1_b32 exec_lo, exec_lo, s10
	s_cbranch_execnz .LBB1_34
; %bb.35:                               ;   in Loop: Header=BB1_31 Depth=1
	s_or_b32 exec_lo, exec_lo, s10
.LBB1_36:                               ;   in Loop: Header=BB1_31 Depth=1
	s_delay_alu instid0(SALU_CYCLE_1)
	s_or_b32 exec_lo, exec_lo, s5
	v_mov_b32_e32 v9, v29
.LBB1_37:                               ;   in Loop: Header=BB1_31 Depth=1
	s_or_saveexec_b32 s0, s4
	v_mov_b32_e32 v14, 0
	s_xor_b32 exec_lo, exec_lo, s0
	s_cbranch_execz .LBB1_39
; %bb.38:                               ;   in Loop: Header=BB1_31 Depth=1
	scratch_load_b64 v[2:3], v29, off
	v_add_nc_u32_e32 v14, -8, v34
.LBB1_39:                               ;   in Loop: Header=BB1_31 Depth=1
	s_wait_xcnt 0x0
	s_or_b32 exec_lo, exec_lo, s0
	v_add_nc_u32_e32 v8, 8, v9
                                        ; implicit-def: $vgpr12_vgpr13
	s_mov_b32 s0, exec_lo
	v_cmpx_gt_u32_e32 8, v14
	s_xor_b32 s4, exec_lo, s0
	s_cbranch_execz .LBB1_45
; %bb.40:                               ;   in Loop: Header=BB1_31 Depth=1
	v_mov_b64_e32 v[12:13], 0
	s_mov_b32 s5, exec_lo
	v_cmpx_ne_u32_e32 0, v14
	s_cbranch_execz .LBB1_44
; %bb.41:                               ;   in Loop: Header=BB1_31 Depth=1
	v_mov_b64_e32 v[12:13], 0
	s_mov_b64 s[0:1], 0
	s_mov_b32 s10, 0
	s_mov_b32 s11, 0
.LBB1_42:                               ;   Parent Loop BB1_31 Depth=1
                                        ; =>  This Inner Loop Header: Depth=2
	scratch_load_u8 v8, v9, s11
	v_mov_b32_e32 v17, s7
	s_wait_xcnt 0x0
	s_add_co_i32 s11, s11, 1
	s_delay_alu instid0(SALU_CYCLE_1) | instskip(SKIP_3) | instid1(VALU_DEP_1)
	v_cmp_eq_u32_e32 vcc_lo, s11, v14
	s_or_b32 s10, vcc_lo, s10
	s_wait_loadcnt 0x0
	v_and_b32_e32 v16, 0xffff, v8
	v_lshlrev_b64_e32 v[16:17], s0, v[16:17]
	s_add_nc_u64 s[0:1], s[0:1], 8
	s_delay_alu instid0(VALU_DEP_1) | instskip(NEXT) | instid1(VALU_DEP_2)
	v_or_b32_e32 v13, v17, v13
	v_or_b32_e32 v12, v16, v12
	s_and_not1_b32 exec_lo, exec_lo, s10
	s_cbranch_execnz .LBB1_42
; %bb.43:                               ;   in Loop: Header=BB1_31 Depth=1
	s_or_b32 exec_lo, exec_lo, s10
.LBB1_44:                               ;   in Loop: Header=BB1_31 Depth=1
	s_delay_alu instid0(SALU_CYCLE_1)
	s_or_b32 exec_lo, exec_lo, s5
	v_mov_b32_e32 v8, v9
                                        ; implicit-def: $vgpr14
.LBB1_45:                               ;   in Loop: Header=BB1_31 Depth=1
	s_or_saveexec_b32 s0, s4
	v_mov_b32_e32 v16, 0
	s_xor_b32 exec_lo, exec_lo, s0
	s_cbranch_execz .LBB1_47
; %bb.46:                               ;   in Loop: Header=BB1_31 Depth=1
	scratch_load_b64 v[12:13], v9, off
	v_add_nc_u32_e32 v16, -8, v14
.LBB1_47:                               ;   in Loop: Header=BB1_31 Depth=1
	s_wait_xcnt 0x0
	s_or_b32 exec_lo, exec_lo, s0
	v_add_nc_u32_e32 v9, 8, v8
	s_mov_b32 s0, exec_lo
	v_cmpx_gt_u32_e32 8, v16
	s_xor_b32 s4, exec_lo, s0
	s_cbranch_execz .LBB1_53
; %bb.48:                               ;   in Loop: Header=BB1_31 Depth=1
	v_mov_b64_e32 v[14:15], 0
	s_mov_b32 s5, exec_lo
	v_cmpx_ne_u32_e32 0, v16
	s_cbranch_execz .LBB1_52
; %bb.49:                               ;   in Loop: Header=BB1_31 Depth=1
	v_mov_b64_e32 v[14:15], 0
	s_mov_b64 s[0:1], 0
	s_mov_b32 s10, 0
	s_mov_b32 s11, 0
.LBB1_50:                               ;   Parent Loop BB1_31 Depth=1
                                        ; =>  This Inner Loop Header: Depth=2
	scratch_load_u8 v9, v8, s11
	v_mov_b32_e32 v19, s7
	s_wait_xcnt 0x0
	s_add_co_i32 s11, s11, 1
	s_delay_alu instid0(SALU_CYCLE_1) | instskip(SKIP_3) | instid1(VALU_DEP_1)
	v_cmp_eq_u32_e32 vcc_lo, s11, v16
	s_or_b32 s10, vcc_lo, s10
	s_wait_loadcnt 0x0
	v_and_b32_e32 v18, 0xffff, v9
	v_lshlrev_b64_e32 v[18:19], s0, v[18:19]
	s_add_nc_u64 s[0:1], s[0:1], 8
	s_delay_alu instid0(VALU_DEP_1) | instskip(NEXT) | instid1(VALU_DEP_2)
	v_or_b32_e32 v15, v19, v15
	v_or_b32_e32 v14, v18, v14
	s_and_not1_b32 exec_lo, exec_lo, s10
	s_cbranch_execnz .LBB1_50
; %bb.51:                               ;   in Loop: Header=BB1_31 Depth=1
	s_or_b32 exec_lo, exec_lo, s10
.LBB1_52:                               ;   in Loop: Header=BB1_31 Depth=1
	s_delay_alu instid0(SALU_CYCLE_1)
	s_or_b32 exec_lo, exec_lo, s5
	v_mov_b32_e32 v9, v8
                                        ; implicit-def: $vgpr16
.LBB1_53:                               ;   in Loop: Header=BB1_31 Depth=1
	s_or_saveexec_b32 s0, s4
	v_mov_b32_e32 v18, 0
	s_xor_b32 exec_lo, exec_lo, s0
	s_cbranch_execz .LBB1_55
; %bb.54:                               ;   in Loop: Header=BB1_31 Depth=1
	scratch_load_b64 v[14:15], v8, off
	v_add_nc_u32_e32 v18, -8, v16
.LBB1_55:                               ;   in Loop: Header=BB1_31 Depth=1
	s_wait_xcnt 0x0
	s_or_b32 exec_lo, exec_lo, s0
	v_add_nc_u32_e32 v8, 8, v9
                                        ; implicit-def: $vgpr16_vgpr17
	s_mov_b32 s0, exec_lo
	v_cmpx_gt_u32_e32 8, v18
	s_xor_b32 s4, exec_lo, s0
	s_cbranch_execz .LBB1_61
; %bb.56:                               ;   in Loop: Header=BB1_31 Depth=1
	v_mov_b64_e32 v[16:17], 0
	s_mov_b32 s5, exec_lo
	v_cmpx_ne_u32_e32 0, v18
	s_cbranch_execz .LBB1_60
; %bb.57:                               ;   in Loop: Header=BB1_31 Depth=1
	v_mov_b64_e32 v[16:17], 0
	s_mov_b64 s[0:1], 0
	s_mov_b32 s10, 0
	s_mov_b32 s11, 0
.LBB1_58:                               ;   Parent Loop BB1_31 Depth=1
                                        ; =>  This Inner Loop Header: Depth=2
	scratch_load_u8 v8, v9, s11
	v_mov_b32_e32 v21, s7
	s_wait_xcnt 0x0
	s_add_co_i32 s11, s11, 1
	s_delay_alu instid0(SALU_CYCLE_1) | instskip(SKIP_3) | instid1(VALU_DEP_1)
	v_cmp_eq_u32_e32 vcc_lo, s11, v18
	s_or_b32 s10, vcc_lo, s10
	s_wait_loadcnt 0x0
	v_and_b32_e32 v20, 0xffff, v8
	v_lshlrev_b64_e32 v[20:21], s0, v[20:21]
	s_add_nc_u64 s[0:1], s[0:1], 8
	s_delay_alu instid0(VALU_DEP_1) | instskip(NEXT) | instid1(VALU_DEP_2)
	v_or_b32_e32 v17, v21, v17
	v_or_b32_e32 v16, v20, v16
	s_and_not1_b32 exec_lo, exec_lo, s10
	s_cbranch_execnz .LBB1_58
; %bb.59:                               ;   in Loop: Header=BB1_31 Depth=1
	s_or_b32 exec_lo, exec_lo, s10
.LBB1_60:                               ;   in Loop: Header=BB1_31 Depth=1
	s_delay_alu instid0(SALU_CYCLE_1)
	s_or_b32 exec_lo, exec_lo, s5
	v_mov_b32_e32 v8, v9
                                        ; implicit-def: $vgpr18
.LBB1_61:                               ;   in Loop: Header=BB1_31 Depth=1
	s_or_saveexec_b32 s0, s4
	v_mov_b32_e32 v20, 0
	s_xor_b32 exec_lo, exec_lo, s0
	s_cbranch_execz .LBB1_63
; %bb.62:                               ;   in Loop: Header=BB1_31 Depth=1
	scratch_load_b64 v[16:17], v9, off
	v_add_nc_u32_e32 v20, -8, v18
.LBB1_63:                               ;   in Loop: Header=BB1_31 Depth=1
	s_wait_xcnt 0x0
	s_or_b32 exec_lo, exec_lo, s0
	v_add_nc_u32_e32 v9, 8, v8
	s_mov_b32 s0, exec_lo
	v_cmpx_gt_u32_e32 8, v20
	s_xor_b32 s4, exec_lo, s0
	s_cbranch_execz .LBB1_69
; %bb.64:                               ;   in Loop: Header=BB1_31 Depth=1
	v_mov_b64_e32 v[18:19], 0
	s_mov_b32 s5, exec_lo
	v_cmpx_ne_u32_e32 0, v20
	s_cbranch_execz .LBB1_68
; %bb.65:                               ;   in Loop: Header=BB1_31 Depth=1
	v_mov_b64_e32 v[18:19], 0
	s_mov_b64 s[0:1], 0
	s_mov_b32 s10, 0
	s_mov_b32 s11, 0
.LBB1_66:                               ;   Parent Loop BB1_31 Depth=1
                                        ; =>  This Inner Loop Header: Depth=2
	scratch_load_u8 v9, v8, s11
	v_mov_b32_e32 v23, s7
	s_wait_xcnt 0x0
	s_add_co_i32 s11, s11, 1
	s_delay_alu instid0(SALU_CYCLE_1) | instskip(SKIP_3) | instid1(VALU_DEP_1)
	v_cmp_eq_u32_e32 vcc_lo, s11, v20
	s_or_b32 s10, vcc_lo, s10
	s_wait_loadcnt 0x0
	v_and_b32_e32 v22, 0xffff, v9
	v_lshlrev_b64_e32 v[22:23], s0, v[22:23]
	s_add_nc_u64 s[0:1], s[0:1], 8
	s_delay_alu instid0(VALU_DEP_1) | instskip(NEXT) | instid1(VALU_DEP_2)
	v_or_b32_e32 v19, v23, v19
	v_or_b32_e32 v18, v22, v18
	s_and_not1_b32 exec_lo, exec_lo, s10
	s_cbranch_execnz .LBB1_66
; %bb.67:                               ;   in Loop: Header=BB1_31 Depth=1
	s_or_b32 exec_lo, exec_lo, s10
.LBB1_68:                               ;   in Loop: Header=BB1_31 Depth=1
	s_delay_alu instid0(SALU_CYCLE_1)
	s_or_b32 exec_lo, exec_lo, s5
	v_mov_b32_e32 v9, v8
                                        ; implicit-def: $vgpr20
.LBB1_69:                               ;   in Loop: Header=BB1_31 Depth=1
	s_or_saveexec_b32 s0, s4
	v_mov_b32_e32 v22, 0
	s_xor_b32 exec_lo, exec_lo, s0
	s_cbranch_execz .LBB1_71
; %bb.70:                               ;   in Loop: Header=BB1_31 Depth=1
	scratch_load_b64 v[18:19], v8, off
	v_add_nc_u32_e32 v22, -8, v20
.LBB1_71:                               ;   in Loop: Header=BB1_31 Depth=1
	s_wait_xcnt 0x0
	s_or_b32 exec_lo, exec_lo, s0
	v_add_nc_u32_e32 v8, 8, v9
                                        ; implicit-def: $vgpr20_vgpr21
	s_mov_b32 s0, exec_lo
	v_cmpx_gt_u32_e32 8, v22
	s_xor_b32 s4, exec_lo, s0
	s_cbranch_execz .LBB1_77
; %bb.72:                               ;   in Loop: Header=BB1_31 Depth=1
	v_mov_b64_e32 v[20:21], 0
	s_mov_b32 s5, exec_lo
	v_cmpx_ne_u32_e32 0, v22
	s_cbranch_execz .LBB1_76
; %bb.73:                               ;   in Loop: Header=BB1_31 Depth=1
	v_mov_b64_e32 v[20:21], 0
	s_mov_b64 s[0:1], 0
	s_mov_b32 s10, 0
	s_mov_b32 s11, 0
.LBB1_74:                               ;   Parent Loop BB1_31 Depth=1
                                        ; =>  This Inner Loop Header: Depth=2
	scratch_load_u8 v8, v9, s11
	v_mov_b32_e32 v25, s7
	s_wait_xcnt 0x0
	s_add_co_i32 s11, s11, 1
	s_delay_alu instid0(SALU_CYCLE_1) | instskip(SKIP_3) | instid1(VALU_DEP_1)
	v_cmp_eq_u32_e32 vcc_lo, s11, v22
	s_or_b32 s10, vcc_lo, s10
	s_wait_loadcnt 0x0
	v_and_b32_e32 v24, 0xffff, v8
	v_lshlrev_b64_e32 v[24:25], s0, v[24:25]
	s_add_nc_u64 s[0:1], s[0:1], 8
	s_delay_alu instid0(VALU_DEP_1) | instskip(NEXT) | instid1(VALU_DEP_2)
	v_or_b32_e32 v21, v25, v21
	v_or_b32_e32 v20, v24, v20
	s_and_not1_b32 exec_lo, exec_lo, s10
	s_cbranch_execnz .LBB1_74
; %bb.75:                               ;   in Loop: Header=BB1_31 Depth=1
	s_or_b32 exec_lo, exec_lo, s10
.LBB1_76:                               ;   in Loop: Header=BB1_31 Depth=1
	s_delay_alu instid0(SALU_CYCLE_1)
	s_or_b32 exec_lo, exec_lo, s5
	v_mov_b32_e32 v8, v9
                                        ; implicit-def: $vgpr22
.LBB1_77:                               ;   in Loop: Header=BB1_31 Depth=1
	s_or_saveexec_b32 s0, s4
	v_mov_b32_e32 v24, 0
	s_xor_b32 exec_lo, exec_lo, s0
	s_cbranch_execz .LBB1_79
; %bb.78:                               ;   in Loop: Header=BB1_31 Depth=1
	scratch_load_b64 v[20:21], v9, off
	v_add_nc_u32_e32 v24, -8, v22
.LBB1_79:                               ;   in Loop: Header=BB1_31 Depth=1
	s_wait_xcnt 0x0
	s_or_b32 exec_lo, exec_lo, s0
	s_delay_alu instid0(SALU_CYCLE_1) | instskip(NEXT) | instid1(VALU_DEP_1)
	s_mov_b32 s0, exec_lo
	v_cmpx_gt_u32_e32 8, v24
	s_xor_b32 s4, exec_lo, s0
	s_cbranch_execz .LBB1_85
; %bb.80:                               ;   in Loop: Header=BB1_31 Depth=1
	v_mov_b64_e32 v[22:23], 0
	s_mov_b32 s5, exec_lo
	v_cmpx_ne_u32_e32 0, v24
	s_cbranch_execz .LBB1_84
; %bb.81:                               ;   in Loop: Header=BB1_31 Depth=1
	v_mov_b64_e32 v[22:23], 0
	s_mov_b64 s[0:1], 0
	s_mov_b32 s10, 0
.LBB1_82:                               ;   Parent Loop BB1_31 Depth=1
                                        ; =>  This Inner Loop Header: Depth=2
	scratch_load_u8 v9, v8, off
	v_dual_mov_b32 v27, s7 :: v_dual_add_nc_u32 v24, -1, v24
	s_delay_alu instid0(VALU_DEP_1) | instskip(SKIP_3) | instid1(VALU_DEP_1)
	v_cmp_eq_u32_e32 vcc_lo, 0, v24
	s_or_b32 s10, vcc_lo, s10
	s_wait_loadcnt 0x0
	v_and_b32_e32 v26, 0xffff, v9
	v_lshlrev_b64_e32 v[26:27], s0, v[26:27]
	s_wait_xcnt 0x0
	v_add_nc_u32_e32 v8, 1, v8
	s_add_nc_u64 s[0:1], s[0:1], 8
	s_delay_alu instid0(VALU_DEP_2) | instskip(NEXT) | instid1(VALU_DEP_3)
	v_or_b32_e32 v23, v27, v23
	v_or_b32_e32 v22, v26, v22
	s_and_not1_b32 exec_lo, exec_lo, s10
	s_cbranch_execnz .LBB1_82
; %bb.83:                               ;   in Loop: Header=BB1_31 Depth=1
	s_or_b32 exec_lo, exec_lo, s10
.LBB1_84:                               ;   in Loop: Header=BB1_31 Depth=1
	s_delay_alu instid0(SALU_CYCLE_1)
	s_or_b32 exec_lo, exec_lo, s5
                                        ; implicit-def: $vgpr8
.LBB1_85:                               ;   in Loop: Header=BB1_31 Depth=1
	s_and_not1_saveexec_b32 s0, s4
	s_cbranch_execz .LBB1_87
; %bb.86:                               ;   in Loop: Header=BB1_31 Depth=1
	scratch_load_b64 v[22:23], v8, off
.LBB1_87:                               ;   in Loop: Header=BB1_31 Depth=1
	s_wait_xcnt 0x0
	s_or_b32 exec_lo, exec_lo, s0
	v_readfirstlane_b32 s0, v48
	v_mov_b64_e32 v[8:9], 0
	s_delay_alu instid0(VALU_DEP_2)
	v_cmp_eq_u32_e64 s0, s0, v48
	s_and_saveexec_b32 s1, s0
	s_cbranch_execz .LBB1_93
; %bb.88:                               ;   in Loop: Header=BB1_31 Depth=1
	global_load_b64 v[26:27], v31, s[2:3] offset:24 scope:SCOPE_SYS
	s_wait_loadcnt 0x0
	global_inv scope:SCOPE_SYS
	s_clause 0x1
	global_load_b64 v[8:9], v31, s[2:3] offset:40
	global_load_b64 v[24:25], v31, s[2:3]
	s_mov_b32 s4, exec_lo
	s_wait_loadcnt 0x1
	v_and_b32_e32 v8, v8, v26
	v_and_b32_e32 v9, v9, v27
	s_delay_alu instid0(VALU_DEP_1) | instskip(SKIP_1) | instid1(VALU_DEP_1)
	v_mul_u64_e32 v[8:9], 24, v[8:9]
	s_wait_loadcnt 0x0
	v_add_nc_u64_e32 v[8:9], v[24:25], v[8:9]
	global_load_b64 v[24:25], v[8:9], off scope:SCOPE_SYS
	s_wait_xcnt 0x0
	s_wait_loadcnt 0x0
	global_atomic_cmpswap_b64 v[8:9], v31, v[24:27], s[2:3] offset:24 th:TH_ATOMIC_RETURN scope:SCOPE_SYS
	s_wait_loadcnt 0x0
	global_inv scope:SCOPE_SYS
	s_wait_xcnt 0x0
	v_cmpx_ne_u64_e64 v[8:9], v[26:27]
	s_cbranch_execz .LBB1_92
; %bb.89:                               ;   in Loop: Header=BB1_31 Depth=1
	s_mov_b32 s5, 0
.LBB1_90:                               ;   Parent Loop BB1_31 Depth=1
                                        ; =>  This Inner Loop Header: Depth=2
	s_sleep 1
	s_clause 0x1
	global_load_b64 v[24:25], v31, s[2:3] offset:40
	global_load_b64 v[36:37], v31, s[2:3]
	v_mov_b64_e32 v[26:27], v[8:9]
	s_wait_loadcnt 0x1
	s_delay_alu instid0(VALU_DEP_1) | instskip(NEXT) | instid1(VALU_DEP_2)
	v_and_b32_e32 v8, v24, v26
	v_and_b32_e32 v24, v25, v27
	s_wait_loadcnt 0x0
	s_delay_alu instid0(VALU_DEP_2) | instskip(NEXT) | instid1(VALU_DEP_1)
	v_mad_nc_u64_u32 v[8:9], v8, 24, v[36:37]
	v_mad_u32 v9, v24, 24, v9
	global_load_b64 v[24:25], v[8:9], off scope:SCOPE_SYS
	s_wait_xcnt 0x0
	s_wait_loadcnt 0x0
	global_atomic_cmpswap_b64 v[8:9], v31, v[24:27], s[2:3] offset:24 th:TH_ATOMIC_RETURN scope:SCOPE_SYS
	s_wait_loadcnt 0x0
	global_inv scope:SCOPE_SYS
	v_cmp_eq_u64_e32 vcc_lo, v[8:9], v[26:27]
	s_or_b32 s5, vcc_lo, s5
	s_wait_xcnt 0x0
	s_and_not1_b32 exec_lo, exec_lo, s5
	s_cbranch_execnz .LBB1_90
; %bb.91:                               ;   in Loop: Header=BB1_31 Depth=1
	s_or_b32 exec_lo, exec_lo, s5
.LBB1_92:                               ;   in Loop: Header=BB1_31 Depth=1
	s_delay_alu instid0(SALU_CYCLE_1)
	s_or_b32 exec_lo, exec_lo, s4
.LBB1_93:                               ;   in Loop: Header=BB1_31 Depth=1
	s_delay_alu instid0(SALU_CYCLE_1)
	s_or_b32 exec_lo, exec_lo, s1
	s_clause 0x1
	global_load_b64 v[36:37], v31, s[2:3] offset:40
	global_load_b128 v[24:27], v31, s[2:3]
	v_readfirstlane_b32 s4, v8
	v_readfirstlane_b32 s5, v9
	s_mov_b32 s1, exec_lo
	s_wait_loadcnt 0x1
	v_and_b32_e32 v38, s4, v36
	v_and_b32_e32 v39, s5, v37
	s_delay_alu instid0(VALU_DEP_1) | instskip(SKIP_1) | instid1(VALU_DEP_1)
	v_mul_u64_e32 v[8:9], 24, v[38:39]
	s_wait_loadcnt 0x0
	v_add_nc_u64_e32 v[36:37], v[24:25], v[8:9]
	s_wait_xcnt 0x0
	s_and_saveexec_b32 s10, s0
	s_cbranch_execz .LBB1_95
; %bb.94:                               ;   in Loop: Header=BB1_31 Depth=1
	v_dual_mov_b32 v8, s1 :: v_dual_mov_b32 v9, v31
	global_store_b128 v[36:37], v[8:11], off offset:8
.LBB1_95:                               ;   in Loop: Header=BB1_31 Depth=1
	s_wait_xcnt 0x0
	s_or_b32 exec_lo, exec_lo, s10
	v_cmp_gt_u64_e32 vcc_lo, 57, v[32:33]
	v_lshlrev_b64_e32 v[8:9], 12, v[38:39]
	v_and_b32_e32 v0, 0xffffff1f, v0
	v_lshl_add_u32 v39, v34, 2, 28
	v_cndmask_b32_e32 v38, 0, v28, vcc_lo
	s_delay_alu instid0(VALU_DEP_4) | instskip(NEXT) | instid1(VALU_DEP_2)
	v_add_nc_u64_e32 v[8:9], v[26:27], v[8:9]
	v_or_b32_e32 v0, v0, v38
	s_delay_alu instid0(VALU_DEP_2) | instskip(NEXT) | instid1(VALU_DEP_3)
	v_readfirstlane_b32 s10, v8
	v_readfirstlane_b32 s11, v9
	s_delay_alu instid0(VALU_DEP_3)
	v_and_or_b32 v0, 0x1e0, v39, v0
	s_clause 0x3
	global_store_b128 v30, v[0:3], s[10:11]
	global_store_b128 v30, v[12:15], s[10:11] offset:16
	global_store_b128 v30, v[16:19], s[10:11] offset:32
	;; [unrolled: 1-line block ×3, first 2 shown]
	s_wait_xcnt 0x0
	s_and_saveexec_b32 s1, s0
	s_cbranch_execz .LBB1_103
; %bb.96:                               ;   in Loop: Header=BB1_31 Depth=1
	s_clause 0x1
	global_load_b64 v[16:17], v31, s[2:3] offset:32 scope:SCOPE_SYS
	global_load_b64 v[0:1], v31, s[2:3] offset:40
	s_mov_b32 s10, exec_lo
	v_dual_mov_b32 v14, s4 :: v_dual_mov_b32 v15, s5
	s_wait_loadcnt 0x0
	v_and_b32_e32 v1, s5, v1
	v_and_b32_e32 v0, s4, v0
	s_delay_alu instid0(VALU_DEP_1) | instskip(NEXT) | instid1(VALU_DEP_1)
	v_mul_u64_e32 v[0:1], 24, v[0:1]
	v_add_nc_u64_e32 v[12:13], v[24:25], v[0:1]
	global_store_b64 v[12:13], v[16:17], off
	global_wb scope:SCOPE_SYS
	s_wait_storecnt 0x0
	s_wait_xcnt 0x0
	global_atomic_cmpswap_b64 v[2:3], v31, v[14:17], s[2:3] offset:32 th:TH_ATOMIC_RETURN scope:SCOPE_SYS
	s_wait_loadcnt 0x0
	v_cmpx_ne_u64_e64 v[2:3], v[16:17]
	s_cbranch_execz .LBB1_99
; %bb.97:                               ;   in Loop: Header=BB1_31 Depth=1
	s_mov_b32 s11, 0
.LBB1_98:                               ;   Parent Loop BB1_31 Depth=1
                                        ; =>  This Inner Loop Header: Depth=2
	v_dual_mov_b32 v0, s4 :: v_dual_mov_b32 v1, s5
	s_sleep 1
	global_store_b64 v[12:13], v[2:3], off
	global_wb scope:SCOPE_SYS
	s_wait_storecnt 0x0
	s_wait_xcnt 0x0
	global_atomic_cmpswap_b64 v[0:1], v31, v[0:3], s[2:3] offset:32 th:TH_ATOMIC_RETURN scope:SCOPE_SYS
	s_wait_loadcnt 0x0
	v_cmp_eq_u64_e32 vcc_lo, v[0:1], v[2:3]
	v_mov_b64_e32 v[2:3], v[0:1]
	s_or_b32 s11, vcc_lo, s11
	s_delay_alu instid0(SALU_CYCLE_1)
	s_and_not1_b32 exec_lo, exec_lo, s11
	s_cbranch_execnz .LBB1_98
.LBB1_99:                               ;   in Loop: Header=BB1_31 Depth=1
	s_or_b32 exec_lo, exec_lo, s10
	global_load_b64 v[0:1], v31, s[2:3] offset:16
	s_mov_b32 s11, exec_lo
	s_mov_b32 s10, exec_lo
	v_mbcnt_lo_u32_b32 v2, s11, 0
	s_wait_xcnt 0x0
	s_delay_alu instid0(VALU_DEP_1)
	v_cmpx_eq_u32_e32 0, v2
	s_cbranch_execz .LBB1_101
; %bb.100:                              ;   in Loop: Header=BB1_31 Depth=1
	s_bcnt1_i32_b32 s11, s11
	s_delay_alu instid0(SALU_CYCLE_1)
	v_dual_mov_b32 v3, v31 :: v_dual_mov_b32 v2, s11
	global_wb scope:SCOPE_SYS
	s_wait_loadcnt 0x0
	s_wait_storecnt 0x0
	global_atomic_add_u64 v[0:1], v[2:3], off offset:8 scope:SCOPE_SYS
.LBB1_101:                              ;   in Loop: Header=BB1_31 Depth=1
	s_wait_xcnt 0x0
	s_or_b32 exec_lo, exec_lo, s10
	s_wait_loadcnt 0x0
	global_load_b64 v[2:3], v[0:1], off offset:16
	s_wait_loadcnt 0x0
	v_cmp_eq_u64_e32 vcc_lo, 0, v[2:3]
	s_cbranch_vccnz .LBB1_103
; %bb.102:                              ;   in Loop: Header=BB1_31 Depth=1
	global_load_b32 v0, v[0:1], off offset:24
	s_wait_xcnt 0x0
	v_mov_b32_e32 v1, v31
	s_wait_loadcnt 0x0
	v_readfirstlane_b32 s10, v0
	global_wb scope:SCOPE_SYS
	s_wait_storecnt 0x0
	global_store_b64 v[2:3], v[0:1], off scope:SCOPE_SYS
	s_and_b32 m0, s10, 0xffffff
	s_sendmsg sendmsg(MSG_INTERRUPT)
.LBB1_103:                              ;   in Loop: Header=BB1_31 Depth=1
	s_wait_xcnt 0x0
	s_or_b32 exec_lo, exec_lo, s1
	v_add_nc_u64_e32 v[0:1], v[8:9], v[30:31]
	s_branch .LBB1_107
.LBB1_104:                              ;   in Loop: Header=BB1_107 Depth=2
	s_wait_xcnt 0x0
	s_or_b32 exec_lo, exec_lo, s1
	s_delay_alu instid0(VALU_DEP_1)
	v_readfirstlane_b32 s1, v2
	s_cmp_eq_u32 s1, 0
	s_cbranch_scc1 .LBB1_106
; %bb.105:                              ;   in Loop: Header=BB1_107 Depth=2
	s_sleep 1
	s_cbranch_execnz .LBB1_107
	s_branch .LBB1_109
.LBB1_106:                              ;   in Loop: Header=BB1_31 Depth=1
	s_branch .LBB1_109
.LBB1_107:                              ;   Parent Loop BB1_31 Depth=1
                                        ; =>  This Inner Loop Header: Depth=2
	v_mov_b32_e32 v2, 1
	s_and_saveexec_b32 s1, s0
	s_cbranch_execz .LBB1_104
; %bb.108:                              ;   in Loop: Header=BB1_107 Depth=2
	global_load_b32 v2, v[36:37], off offset:20 scope:SCOPE_SYS
	s_wait_loadcnt 0x0
	global_inv scope:SCOPE_SYS
	v_and_b32_e32 v2, 1, v2
	s_branch .LBB1_104
.LBB1_109:                              ;   in Loop: Header=BB1_31 Depth=1
	global_load_b64 v[0:1], v[0:1], off
	s_wait_xcnt 0x0
	s_and_saveexec_b32 s10, s0
	s_cbranch_execz .LBB1_30
; %bb.110:                              ;   in Loop: Header=BB1_31 Depth=1
	s_clause 0x2
	global_load_b64 v[2:3], v31, s[2:3] offset:40
	global_load_b64 v[16:17], v31, s[2:3] offset:24 scope:SCOPE_SYS
	global_load_b64 v[8:9], v31, s[2:3]
	s_wait_loadcnt 0x2
	v_readfirstlane_b32 s12, v2
	v_readfirstlane_b32 s13, v3
	s_add_nc_u64 s[0:1], s[12:13], 1
	s_delay_alu instid0(SALU_CYCLE_1) | instskip(NEXT) | instid1(SALU_CYCLE_1)
	s_add_nc_u64 s[4:5], s[0:1], s[4:5]
	s_cmp_eq_u64 s[4:5], 0
	s_cselect_b32 s1, s1, s5
	s_cselect_b32 s0, s0, s4
	s_delay_alu instid0(SALU_CYCLE_1) | instskip(SKIP_1) | instid1(SALU_CYCLE_1)
	v_dual_mov_b32 v15, s1 :: v_dual_mov_b32 v14, s0
	s_and_b64 s[4:5], s[0:1], s[12:13]
	s_mul_u64 s[4:5], s[4:5], 24
	s_wait_loadcnt 0x0
	v_add_nc_u64_e32 v[2:3], s[4:5], v[8:9]
	global_store_b64 v[2:3], v[16:17], off
	global_wb scope:SCOPE_SYS
	s_wait_storecnt 0x0
	s_wait_xcnt 0x0
	global_atomic_cmpswap_b64 v[14:15], v31, v[14:17], s[2:3] offset:24 th:TH_ATOMIC_RETURN scope:SCOPE_SYS
	s_wait_loadcnt 0x0
	v_cmp_ne_u64_e32 vcc_lo, v[14:15], v[16:17]
	s_and_b32 exec_lo, exec_lo, vcc_lo
	s_cbranch_execz .LBB1_30
; %bb.111:                              ;   in Loop: Header=BB1_31 Depth=1
	s_mov_b32 s4, 0
.LBB1_112:                              ;   Parent Loop BB1_31 Depth=1
                                        ; =>  This Inner Loop Header: Depth=2
	v_dual_mov_b32 v12, s0 :: v_dual_mov_b32 v13, s1
	s_sleep 1
	global_store_b64 v[2:3], v[14:15], off
	global_wb scope:SCOPE_SYS
	s_wait_storecnt 0x0
	s_wait_xcnt 0x0
	global_atomic_cmpswap_b64 v[8:9], v31, v[12:15], s[2:3] offset:24 th:TH_ATOMIC_RETURN scope:SCOPE_SYS
	s_wait_loadcnt 0x0
	v_cmp_eq_u64_e32 vcc_lo, v[8:9], v[14:15]
	v_mov_b64_e32 v[14:15], v[8:9]
	s_or_b32 s4, vcc_lo, s4
	s_delay_alu instid0(SALU_CYCLE_1)
	s_and_not1_b32 exec_lo, exec_lo, s4
	s_cbranch_execnz .LBB1_112
	s_branch .LBB1_30
.LBB1_113:
                                        ; implicit-def: $vgpr0_vgpr1
	s_cbranch_execnz .LBB1_193
.LBB1_114:
	s_get_pc_i64 s[4:5]
	s_add_nc_u64 s[4:5], s[4:5], .str.4@rel64+4
	s_delay_alu instid0(SALU_CYCLE_1)
	s_cmp_lg_u64 s[4:5], 0
	s_cbranch_scc0 .LBB1_221
.LBB1_115:
	v_mov_b64_e32 v[12:13], 0x100000002
	s_get_pc_i64 s[0:1]
	s_add_nc_u64 s[0:1], s[0:1], .str.4@rel64+80
	s_wait_loadcnt 0x0
	v_dual_mov_b32 v11, 0 :: v_dual_bitop2_b32 v2, 2, v0 bitop3:0x40
	v_dual_mov_b32 v7, v1 :: v_dual_bitop2_b32 v6, -3, v0 bitop3:0x40
	s_sub_co_i32 s6, s0, s4
	s_delay_alu instid0(SALU_CYCLE_1)
	s_ashr_i32 s7, s6, 31
	s_branch .LBB1_117
.LBB1_116:                              ;   in Loop: Header=BB1_117 Depth=1
	s_or_b32 exec_lo, exec_lo, s14
	s_sub_nc_u64 s[6:7], s[6:7], s[10:11]
	s_add_nc_u64 s[4:5], s[4:5], s[10:11]
	s_cmp_lg_u64 s[6:7], 0
	s_cbranch_scc0 .LBB1_215
.LBB1_117:                              ; =>This Loop Header: Depth=1
                                        ;     Child Loop BB1_120 Depth 2
                                        ;     Child Loop BB1_127 Depth 2
	;; [unrolled: 1-line block ×11, first 2 shown]
	v_min_u64 v[8:9], s[6:7], 56
	v_cmp_gt_u64_e64 s0, s[6:7], 7
	s_and_b32 vcc_lo, exec_lo, s0
	v_readfirstlane_b32 s10, v8
	v_readfirstlane_b32 s11, v9
	s_cbranch_vccnz .LBB1_122
; %bb.118:                              ;   in Loop: Header=BB1_117 Depth=1
	v_mov_b64_e32 v[8:9], 0
	s_cmp_eq_u64 s[6:7], 0
	s_cbranch_scc1 .LBB1_121
; %bb.119:                              ;   in Loop: Header=BB1_117 Depth=1
	s_mov_b64 s[0:1], 0
	s_mov_b64 s[12:13], 0
.LBB1_120:                              ;   Parent Loop BB1_117 Depth=1
                                        ; =>  This Inner Loop Header: Depth=2
	s_wait_xcnt 0x0
	s_add_nc_u64 s[14:15], s[4:5], s[12:13]
	s_add_nc_u64 s[12:13], s[12:13], 1
	global_load_u8 v3, v11, s[14:15]
	s_cmp_lg_u32 s10, s12
	s_wait_loadcnt 0x0
	v_and_b32_e32 v10, 0xffff, v3
	s_delay_alu instid0(VALU_DEP_1) | instskip(SKIP_1) | instid1(VALU_DEP_1)
	v_lshlrev_b64_e32 v[14:15], s0, v[10:11]
	s_add_nc_u64 s[0:1], s[0:1], 8
	v_or_b32_e32 v8, v14, v8
	s_delay_alu instid0(VALU_DEP_2)
	v_or_b32_e32 v9, v15, v9
	s_cbranch_scc1 .LBB1_120
.LBB1_121:                              ;   in Loop: Header=BB1_117 Depth=1
	s_mov_b64 s[12:13], s[4:5]
	s_mov_b32 s16, 0
	s_cbranch_execz .LBB1_123
	s_branch .LBB1_124
.LBB1_122:                              ;   in Loop: Header=BB1_117 Depth=1
	s_add_nc_u64 s[12:13], s[4:5], 8
	s_mov_b32 s16, 0
.LBB1_123:                              ;   in Loop: Header=BB1_117 Depth=1
	global_load_b64 v[8:9], v11, s[4:5]
	s_add_co_i32 s16, s10, -8
.LBB1_124:                              ;   in Loop: Header=BB1_117 Depth=1
	s_delay_alu instid0(SALU_CYCLE_1)
	s_cmp_gt_u32 s16, 7
	s_cbranch_scc1 .LBB1_129
; %bb.125:                              ;   in Loop: Header=BB1_117 Depth=1
	v_mov_b64_e32 v[14:15], 0
	s_cmp_eq_u32 s16, 0
	s_cbranch_scc1 .LBB1_128
; %bb.126:                              ;   in Loop: Header=BB1_117 Depth=1
	s_mov_b64 s[0:1], 0
	s_wait_xcnt 0x0
	s_mov_b64 s[14:15], 0
.LBB1_127:                              ;   Parent Loop BB1_117 Depth=1
                                        ; =>  This Inner Loop Header: Depth=2
	s_wait_xcnt 0x0
	s_add_nc_u64 s[18:19], s[12:13], s[14:15]
	s_add_nc_u64 s[14:15], s[14:15], 1
	global_load_u8 v3, v11, s[18:19]
	s_cmp_lg_u32 s16, s14
	s_wait_loadcnt 0x0
	v_and_b32_e32 v10, 0xffff, v3
	s_delay_alu instid0(VALU_DEP_1) | instskip(SKIP_1) | instid1(VALU_DEP_1)
	v_lshlrev_b64_e32 v[16:17], s0, v[10:11]
	s_add_nc_u64 s[0:1], s[0:1], 8
	v_or_b32_e32 v14, v16, v14
	s_delay_alu instid0(VALU_DEP_2)
	v_or_b32_e32 v15, v17, v15
	s_cbranch_scc1 .LBB1_127
.LBB1_128:                              ;   in Loop: Header=BB1_117 Depth=1
	s_wait_xcnt 0x0
	s_mov_b64 s[0:1], s[12:13]
	s_mov_b32 s17, 0
	s_cbranch_execz .LBB1_130
	s_branch .LBB1_131
.LBB1_129:                              ;   in Loop: Header=BB1_117 Depth=1
	s_add_nc_u64 s[0:1], s[12:13], 8
	s_wait_xcnt 0x0
                                        ; implicit-def: $vgpr14_vgpr15
	s_mov_b32 s17, 0
.LBB1_130:                              ;   in Loop: Header=BB1_117 Depth=1
	global_load_b64 v[14:15], v11, s[12:13]
	s_add_co_i32 s17, s16, -8
.LBB1_131:                              ;   in Loop: Header=BB1_117 Depth=1
	s_delay_alu instid0(SALU_CYCLE_1)
	s_cmp_gt_u32 s17, 7
	s_cbranch_scc1 .LBB1_136
; %bb.132:                              ;   in Loop: Header=BB1_117 Depth=1
	v_mov_b64_e32 v[16:17], 0
	s_cmp_eq_u32 s17, 0
	s_cbranch_scc1 .LBB1_135
; %bb.133:                              ;   in Loop: Header=BB1_117 Depth=1
	s_wait_xcnt 0x0
	s_mov_b64 s[12:13], 0
	s_mov_b64 s[14:15], 0
.LBB1_134:                              ;   Parent Loop BB1_117 Depth=1
                                        ; =>  This Inner Loop Header: Depth=2
	s_wait_xcnt 0x0
	s_add_nc_u64 s[18:19], s[0:1], s[14:15]
	s_add_nc_u64 s[14:15], s[14:15], 1
	global_load_u8 v3, v11, s[18:19]
	s_cmp_lg_u32 s17, s14
	s_wait_loadcnt 0x0
	v_and_b32_e32 v10, 0xffff, v3
	s_delay_alu instid0(VALU_DEP_1) | instskip(SKIP_1) | instid1(VALU_DEP_1)
	v_lshlrev_b64_e32 v[18:19], s12, v[10:11]
	s_add_nc_u64 s[12:13], s[12:13], 8
	v_or_b32_e32 v16, v18, v16
	s_delay_alu instid0(VALU_DEP_2)
	v_or_b32_e32 v17, v19, v17
	s_cbranch_scc1 .LBB1_134
.LBB1_135:                              ;   in Loop: Header=BB1_117 Depth=1
	s_wait_xcnt 0x0
	s_mov_b64 s[12:13], s[0:1]
	s_mov_b32 s16, 0
	s_cbranch_execz .LBB1_137
	s_branch .LBB1_138
.LBB1_136:                              ;   in Loop: Header=BB1_117 Depth=1
	s_wait_xcnt 0x0
	s_add_nc_u64 s[12:13], s[0:1], 8
	s_mov_b32 s16, 0
.LBB1_137:                              ;   in Loop: Header=BB1_117 Depth=1
	global_load_b64 v[16:17], v11, s[0:1]
	s_add_co_i32 s16, s17, -8
.LBB1_138:                              ;   in Loop: Header=BB1_117 Depth=1
	s_delay_alu instid0(SALU_CYCLE_1)
	s_cmp_gt_u32 s16, 7
	s_cbranch_scc1 .LBB1_143
; %bb.139:                              ;   in Loop: Header=BB1_117 Depth=1
	v_mov_b64_e32 v[18:19], 0
	s_cmp_eq_u32 s16, 0
	s_cbranch_scc1 .LBB1_142
; %bb.140:                              ;   in Loop: Header=BB1_117 Depth=1
	s_wait_xcnt 0x0
	s_mov_b64 s[0:1], 0
	s_mov_b64 s[14:15], 0
.LBB1_141:                              ;   Parent Loop BB1_117 Depth=1
                                        ; =>  This Inner Loop Header: Depth=2
	s_wait_xcnt 0x0
	s_add_nc_u64 s[18:19], s[12:13], s[14:15]
	s_add_nc_u64 s[14:15], s[14:15], 1
	global_load_u8 v3, v11, s[18:19]
	s_cmp_lg_u32 s16, s14
	s_wait_loadcnt 0x0
	v_and_b32_e32 v10, 0xffff, v3
	s_delay_alu instid0(VALU_DEP_1) | instskip(SKIP_1) | instid1(VALU_DEP_1)
	v_lshlrev_b64_e32 v[20:21], s0, v[10:11]
	s_add_nc_u64 s[0:1], s[0:1], 8
	v_or_b32_e32 v18, v20, v18
	s_delay_alu instid0(VALU_DEP_2)
	v_or_b32_e32 v19, v21, v19
	s_cbranch_scc1 .LBB1_141
.LBB1_142:                              ;   in Loop: Header=BB1_117 Depth=1
	s_wait_xcnt 0x0
	s_mov_b64 s[0:1], s[12:13]
	s_mov_b32 s17, 0
	s_cbranch_execz .LBB1_144
	s_branch .LBB1_145
.LBB1_143:                              ;   in Loop: Header=BB1_117 Depth=1
	s_wait_xcnt 0x0
	s_add_nc_u64 s[0:1], s[12:13], 8
                                        ; implicit-def: $vgpr18_vgpr19
	s_mov_b32 s17, 0
.LBB1_144:                              ;   in Loop: Header=BB1_117 Depth=1
	global_load_b64 v[18:19], v11, s[12:13]
	s_add_co_i32 s17, s16, -8
.LBB1_145:                              ;   in Loop: Header=BB1_117 Depth=1
	s_delay_alu instid0(SALU_CYCLE_1)
	s_cmp_gt_u32 s17, 7
	s_cbranch_scc1 .LBB1_150
; %bb.146:                              ;   in Loop: Header=BB1_117 Depth=1
	v_mov_b64_e32 v[20:21], 0
	s_cmp_eq_u32 s17, 0
	s_cbranch_scc1 .LBB1_149
; %bb.147:                              ;   in Loop: Header=BB1_117 Depth=1
	s_wait_xcnt 0x0
	s_mov_b64 s[12:13], 0
	s_mov_b64 s[14:15], 0
.LBB1_148:                              ;   Parent Loop BB1_117 Depth=1
                                        ; =>  This Inner Loop Header: Depth=2
	s_wait_xcnt 0x0
	s_add_nc_u64 s[18:19], s[0:1], s[14:15]
	s_add_nc_u64 s[14:15], s[14:15], 1
	global_load_u8 v3, v11, s[18:19]
	s_cmp_lg_u32 s17, s14
	s_wait_loadcnt 0x0
	v_and_b32_e32 v10, 0xffff, v3
	s_delay_alu instid0(VALU_DEP_1) | instskip(SKIP_1) | instid1(VALU_DEP_1)
	v_lshlrev_b64_e32 v[22:23], s12, v[10:11]
	s_add_nc_u64 s[12:13], s[12:13], 8
	v_or_b32_e32 v20, v22, v20
	s_delay_alu instid0(VALU_DEP_2)
	v_or_b32_e32 v21, v23, v21
	s_cbranch_scc1 .LBB1_148
.LBB1_149:                              ;   in Loop: Header=BB1_117 Depth=1
	s_wait_xcnt 0x0
	s_mov_b64 s[12:13], s[0:1]
	s_mov_b32 s16, 0
	s_cbranch_execz .LBB1_151
	s_branch .LBB1_152
.LBB1_150:                              ;   in Loop: Header=BB1_117 Depth=1
	s_wait_xcnt 0x0
	s_add_nc_u64 s[12:13], s[0:1], 8
	s_mov_b32 s16, 0
.LBB1_151:                              ;   in Loop: Header=BB1_117 Depth=1
	global_load_b64 v[20:21], v11, s[0:1]
	s_add_co_i32 s16, s17, -8
.LBB1_152:                              ;   in Loop: Header=BB1_117 Depth=1
	s_delay_alu instid0(SALU_CYCLE_1)
	s_cmp_gt_u32 s16, 7
	s_cbranch_scc1 .LBB1_157
; %bb.153:                              ;   in Loop: Header=BB1_117 Depth=1
	v_mov_b64_e32 v[22:23], 0
	s_cmp_eq_u32 s16, 0
	s_cbranch_scc1 .LBB1_156
; %bb.154:                              ;   in Loop: Header=BB1_117 Depth=1
	s_wait_xcnt 0x0
	s_mov_b64 s[0:1], 0
	s_mov_b64 s[14:15], 0
.LBB1_155:                              ;   Parent Loop BB1_117 Depth=1
                                        ; =>  This Inner Loop Header: Depth=2
	s_wait_xcnt 0x0
	s_add_nc_u64 s[18:19], s[12:13], s[14:15]
	s_add_nc_u64 s[14:15], s[14:15], 1
	global_load_u8 v3, v11, s[18:19]
	s_cmp_lg_u32 s16, s14
	s_wait_loadcnt 0x0
	v_and_b32_e32 v10, 0xffff, v3
	s_delay_alu instid0(VALU_DEP_1) | instskip(SKIP_1) | instid1(VALU_DEP_1)
	v_lshlrev_b64_e32 v[24:25], s0, v[10:11]
	s_add_nc_u64 s[0:1], s[0:1], 8
	v_or_b32_e32 v22, v24, v22
	s_delay_alu instid0(VALU_DEP_2)
	v_or_b32_e32 v23, v25, v23
	s_cbranch_scc1 .LBB1_155
.LBB1_156:                              ;   in Loop: Header=BB1_117 Depth=1
	s_wait_xcnt 0x0
	s_mov_b64 s[0:1], s[12:13]
	s_mov_b32 s17, 0
	s_cbranch_execz .LBB1_158
	s_branch .LBB1_159
.LBB1_157:                              ;   in Loop: Header=BB1_117 Depth=1
	s_wait_xcnt 0x0
	s_add_nc_u64 s[0:1], s[12:13], 8
                                        ; implicit-def: $vgpr22_vgpr23
	s_mov_b32 s17, 0
.LBB1_158:                              ;   in Loop: Header=BB1_117 Depth=1
	global_load_b64 v[22:23], v11, s[12:13]
	s_add_co_i32 s17, s16, -8
.LBB1_159:                              ;   in Loop: Header=BB1_117 Depth=1
	s_delay_alu instid0(SALU_CYCLE_1)
	s_cmp_gt_u32 s17, 7
	s_cbranch_scc1 .LBB1_164
; %bb.160:                              ;   in Loop: Header=BB1_117 Depth=1
	v_mov_b64_e32 v[24:25], 0
	s_cmp_eq_u32 s17, 0
	s_cbranch_scc1 .LBB1_163
; %bb.161:                              ;   in Loop: Header=BB1_117 Depth=1
	s_wait_xcnt 0x0
	s_mov_b64 s[12:13], 0
	s_mov_b64 s[14:15], s[0:1]
.LBB1_162:                              ;   Parent Loop BB1_117 Depth=1
                                        ; =>  This Inner Loop Header: Depth=2
	global_load_u8 v3, v11, s[14:15]
	s_add_co_i32 s17, s17, -1
	s_wait_xcnt 0x0
	s_add_nc_u64 s[14:15], s[14:15], 1
	s_cmp_lg_u32 s17, 0
	s_wait_loadcnt 0x0
	v_and_b32_e32 v10, 0xffff, v3
	s_delay_alu instid0(VALU_DEP_1) | instskip(SKIP_1) | instid1(VALU_DEP_1)
	v_lshlrev_b64_e32 v[26:27], s12, v[10:11]
	s_add_nc_u64 s[12:13], s[12:13], 8
	v_or_b32_e32 v24, v26, v24
	s_delay_alu instid0(VALU_DEP_2)
	v_or_b32_e32 v25, v27, v25
	s_cbranch_scc1 .LBB1_162
.LBB1_163:                              ;   in Loop: Header=BB1_117 Depth=1
	s_wait_xcnt 0x0
	s_cbranch_execz .LBB1_165
	s_branch .LBB1_166
.LBB1_164:                              ;   in Loop: Header=BB1_117 Depth=1
	s_wait_xcnt 0x0
.LBB1_165:                              ;   in Loop: Header=BB1_117 Depth=1
	global_load_b64 v[24:25], v11, s[0:1]
.LBB1_166:                              ;   in Loop: Header=BB1_117 Depth=1
	s_wait_xcnt 0x0
	v_readfirstlane_b32 s0, v48
	v_mov_b64_e32 v[32:33], 0
	s_delay_alu instid0(VALU_DEP_2)
	v_cmp_eq_u32_e64 s0, s0, v48
	s_and_saveexec_b32 s1, s0
	s_cbranch_execz .LBB1_172
; %bb.167:                              ;   in Loop: Header=BB1_117 Depth=1
	global_load_b64 v[28:29], v11, s[2:3] offset:24 scope:SCOPE_SYS
	s_wait_loadcnt 0x0
	global_inv scope:SCOPE_SYS
	s_clause 0x1
	global_load_b64 v[26:27], v11, s[2:3] offset:40
	global_load_b64 v[32:33], v11, s[2:3]
	s_mov_b32 s12, exec_lo
	s_wait_loadcnt 0x1
	v_and_b32_e32 v26, v26, v28
	v_and_b32_e32 v27, v27, v29
	s_delay_alu instid0(VALU_DEP_1) | instskip(SKIP_1) | instid1(VALU_DEP_1)
	v_mul_u64_e32 v[26:27], 24, v[26:27]
	s_wait_loadcnt 0x0
	v_add_nc_u64_e32 v[26:27], v[32:33], v[26:27]
	global_load_b64 v[26:27], v[26:27], off scope:SCOPE_SYS
	s_wait_xcnt 0x0
	s_wait_loadcnt 0x0
	global_atomic_cmpswap_b64 v[32:33], v11, v[26:29], s[2:3] offset:24 th:TH_ATOMIC_RETURN scope:SCOPE_SYS
	s_wait_loadcnt 0x0
	global_inv scope:SCOPE_SYS
	s_wait_xcnt 0x0
	v_cmpx_ne_u64_e64 v[32:33], v[28:29]
	s_cbranch_execz .LBB1_171
; %bb.168:                              ;   in Loop: Header=BB1_117 Depth=1
	s_mov_b32 s13, 0
.LBB1_169:                              ;   Parent Loop BB1_117 Depth=1
                                        ; =>  This Inner Loop Header: Depth=2
	s_sleep 1
	s_clause 0x1
	global_load_b64 v[26:27], v11, s[2:3] offset:40
	global_load_b64 v[34:35], v11, s[2:3]
	v_mov_b64_e32 v[28:29], v[32:33]
	s_wait_loadcnt 0x1
	s_delay_alu instid0(VALU_DEP_1) | instskip(SKIP_1) | instid1(VALU_DEP_1)
	v_and_b32_e32 v3, v26, v28
	s_wait_loadcnt 0x0
	v_mad_nc_u64_u32 v[32:33], v3, 24, v[34:35]
	s_delay_alu instid0(VALU_DEP_3) | instskip(NEXT) | instid1(VALU_DEP_1)
	v_and_b32_e32 v3, v27, v29
	v_mad_u32 v33, v3, 24, v33
	global_load_b64 v[26:27], v[32:33], off scope:SCOPE_SYS
	s_wait_xcnt 0x0
	s_wait_loadcnt 0x0
	global_atomic_cmpswap_b64 v[32:33], v11, v[26:29], s[2:3] offset:24 th:TH_ATOMIC_RETURN scope:SCOPE_SYS
	s_wait_loadcnt 0x0
	global_inv scope:SCOPE_SYS
	v_cmp_eq_u64_e32 vcc_lo, v[32:33], v[28:29]
	s_or_b32 s13, vcc_lo, s13
	s_wait_xcnt 0x0
	s_and_not1_b32 exec_lo, exec_lo, s13
	s_cbranch_execnz .LBB1_169
; %bb.170:                              ;   in Loop: Header=BB1_117 Depth=1
	s_or_b32 exec_lo, exec_lo, s13
.LBB1_171:                              ;   in Loop: Header=BB1_117 Depth=1
	s_delay_alu instid0(SALU_CYCLE_1)
	s_or_b32 exec_lo, exec_lo, s12
.LBB1_172:                              ;   in Loop: Header=BB1_117 Depth=1
	s_delay_alu instid0(SALU_CYCLE_1)
	s_or_b32 exec_lo, exec_lo, s1
	s_clause 0x1
	global_load_b64 v[34:35], v11, s[2:3] offset:40
	global_load_b128 v[26:29], v11, s[2:3]
	v_readfirstlane_b32 s12, v32
	v_readfirstlane_b32 s13, v33
	s_mov_b32 s1, exec_lo
	s_wait_loadcnt 0x1
	v_and_b32_e32 v34, s12, v34
	v_and_b32_e32 v35, s13, v35
	s_delay_alu instid0(VALU_DEP_1) | instskip(SKIP_1) | instid1(VALU_DEP_1)
	v_mul_u64_e32 v[32:33], 24, v[34:35]
	s_wait_loadcnt 0x0
	v_add_nc_u64_e32 v[32:33], v[26:27], v[32:33]
	s_wait_xcnt 0x0
	s_and_saveexec_b32 s14, s0
	s_cbranch_execz .LBB1_174
; %bb.173:                              ;   in Loop: Header=BB1_117 Depth=1
	v_mov_b32_e32 v10, s1
	global_store_b128 v[32:33], v[10:13], off offset:8
.LBB1_174:                              ;   in Loop: Header=BB1_117 Depth=1
	s_wait_xcnt 0x0
	s_or_b32 exec_lo, exec_lo, s14
	v_cmp_lt_u64_e64 vcc_lo, s[6:7], 57
	v_lshlrev_b64_e32 v[34:35], 12, v[34:35]
	v_and_b32_e32 v6, 0xffffff1f, v6
	s_lshl_b32 s1, s10, 2
	s_delay_alu instid0(SALU_CYCLE_1) | instskip(SKIP_1) | instid1(VALU_DEP_3)
	s_add_co_i32 s1, s1, 28
	v_cndmask_b32_e32 v3, 0, v2, vcc_lo
	v_add_nc_u64_e32 v[28:29], v[28:29], v[34:35]
	s_delay_alu instid0(VALU_DEP_2) | instskip(NEXT) | instid1(VALU_DEP_2)
	v_or_b32_e32 v3, v6, v3
	v_readfirstlane_b32 s14, v28
	s_delay_alu instid0(VALU_DEP_3) | instskip(NEXT) | instid1(VALU_DEP_3)
	v_readfirstlane_b32 s15, v29
	v_and_or_b32 v6, 0x1e0, s1, v3
	s_clause 0x3
	global_store_b128 v30, v[6:9], s[14:15]
	global_store_b128 v30, v[14:17], s[14:15] offset:16
	global_store_b128 v30, v[18:21], s[14:15] offset:32
	;; [unrolled: 1-line block ×3, first 2 shown]
	s_wait_xcnt 0x0
	s_and_saveexec_b32 s1, s0
	s_cbranch_execz .LBB1_182
; %bb.175:                              ;   in Loop: Header=BB1_117 Depth=1
	s_clause 0x1
	global_load_b64 v[18:19], v11, s[2:3] offset:32 scope:SCOPE_SYS
	global_load_b64 v[6:7], v11, s[2:3] offset:40
	s_mov_b32 s14, exec_lo
	v_dual_mov_b32 v16, s12 :: v_dual_mov_b32 v17, s13
	s_wait_loadcnt 0x0
	v_and_b32_e32 v7, s13, v7
	v_and_b32_e32 v6, s12, v6
	s_delay_alu instid0(VALU_DEP_1) | instskip(NEXT) | instid1(VALU_DEP_1)
	v_mul_u64_e32 v[6:7], 24, v[6:7]
	v_add_nc_u64_e32 v[14:15], v[26:27], v[6:7]
	global_store_b64 v[14:15], v[18:19], off
	global_wb scope:SCOPE_SYS
	s_wait_storecnt 0x0
	s_wait_xcnt 0x0
	global_atomic_cmpswap_b64 v[8:9], v11, v[16:19], s[2:3] offset:32 th:TH_ATOMIC_RETURN scope:SCOPE_SYS
	s_wait_loadcnt 0x0
	v_cmpx_ne_u64_e64 v[8:9], v[18:19]
	s_cbranch_execz .LBB1_178
; %bb.176:                              ;   in Loop: Header=BB1_117 Depth=1
	s_mov_b32 s15, 0
.LBB1_177:                              ;   Parent Loop BB1_117 Depth=1
                                        ; =>  This Inner Loop Header: Depth=2
	v_dual_mov_b32 v6, s12 :: v_dual_mov_b32 v7, s13
	s_sleep 1
	global_store_b64 v[14:15], v[8:9], off
	global_wb scope:SCOPE_SYS
	s_wait_storecnt 0x0
	s_wait_xcnt 0x0
	global_atomic_cmpswap_b64 v[6:7], v11, v[6:9], s[2:3] offset:32 th:TH_ATOMIC_RETURN scope:SCOPE_SYS
	s_wait_loadcnt 0x0
	v_cmp_eq_u64_e32 vcc_lo, v[6:7], v[8:9]
	v_mov_b64_e32 v[8:9], v[6:7]
	s_or_b32 s15, vcc_lo, s15
	s_delay_alu instid0(SALU_CYCLE_1)
	s_and_not1_b32 exec_lo, exec_lo, s15
	s_cbranch_execnz .LBB1_177
.LBB1_178:                              ;   in Loop: Header=BB1_117 Depth=1
	s_or_b32 exec_lo, exec_lo, s14
	global_load_b64 v[6:7], v11, s[2:3] offset:16
	s_mov_b32 s15, exec_lo
	s_mov_b32 s14, exec_lo
	v_mbcnt_lo_u32_b32 v3, s15, 0
	s_wait_xcnt 0x0
	s_delay_alu instid0(VALU_DEP_1)
	v_cmpx_eq_u32_e32 0, v3
	s_cbranch_execz .LBB1_180
; %bb.179:                              ;   in Loop: Header=BB1_117 Depth=1
	s_bcnt1_i32_b32 s15, s15
	s_delay_alu instid0(SALU_CYCLE_1)
	v_mov_b32_e32 v10, s15
	global_wb scope:SCOPE_SYS
	s_wait_loadcnt 0x0
	s_wait_storecnt 0x0
	global_atomic_add_u64 v[6:7], v[10:11], off offset:8 scope:SCOPE_SYS
.LBB1_180:                              ;   in Loop: Header=BB1_117 Depth=1
	s_wait_xcnt 0x0
	s_or_b32 exec_lo, exec_lo, s14
	s_wait_loadcnt 0x0
	global_load_b64 v[8:9], v[6:7], off offset:16
	s_wait_loadcnt 0x0
	v_cmp_eq_u64_e32 vcc_lo, 0, v[8:9]
	s_cbranch_vccnz .LBB1_182
; %bb.181:                              ;   in Loop: Header=BB1_117 Depth=1
	global_load_b32 v10, v[6:7], off offset:24
	s_wait_loadcnt 0x0
	v_readfirstlane_b32 s14, v10
	global_wb scope:SCOPE_SYS
	s_wait_storecnt 0x0
	s_wait_xcnt 0x0
	global_store_b64 v[8:9], v[10:11], off scope:SCOPE_SYS
	s_and_b32 m0, s14, 0xffffff
	s_sendmsg sendmsg(MSG_INTERRUPT)
.LBB1_182:                              ;   in Loop: Header=BB1_117 Depth=1
	s_wait_xcnt 0x0
	s_or_b32 exec_lo, exec_lo, s1
	v_mov_b32_e32 v31, v11
	s_delay_alu instid0(VALU_DEP_1)
	v_add_nc_u64_e32 v[6:7], v[28:29], v[30:31]
	s_branch .LBB1_186
.LBB1_183:                              ;   in Loop: Header=BB1_186 Depth=2
	s_wait_xcnt 0x0
	s_or_b32 exec_lo, exec_lo, s1
	s_delay_alu instid0(VALU_DEP_1)
	v_readfirstlane_b32 s1, v3
	s_cmp_eq_u32 s1, 0
	s_cbranch_scc1 .LBB1_185
; %bb.184:                              ;   in Loop: Header=BB1_186 Depth=2
	s_sleep 1
	s_cbranch_execnz .LBB1_186
	s_branch .LBB1_188
.LBB1_185:                              ;   in Loop: Header=BB1_117 Depth=1
	s_branch .LBB1_188
.LBB1_186:                              ;   Parent Loop BB1_117 Depth=1
                                        ; =>  This Inner Loop Header: Depth=2
	v_mov_b32_e32 v3, 1
	s_and_saveexec_b32 s1, s0
	s_cbranch_execz .LBB1_183
; %bb.187:                              ;   in Loop: Header=BB1_186 Depth=2
	global_load_b32 v3, v[32:33], off offset:20 scope:SCOPE_SYS
	s_wait_loadcnt 0x0
	global_inv scope:SCOPE_SYS
	v_and_b32_e32 v3, 1, v3
	s_branch .LBB1_183
.LBB1_188:                              ;   in Loop: Header=BB1_117 Depth=1
	global_load_b64 v[6:7], v[6:7], off
	s_wait_xcnt 0x0
	s_and_saveexec_b32 s14, s0
	s_cbranch_execz .LBB1_116
; %bb.189:                              ;   in Loop: Header=BB1_117 Depth=1
	s_clause 0x2
	global_load_b64 v[8:9], v11, s[2:3] offset:40
	global_load_b64 v[18:19], v11, s[2:3] offset:24 scope:SCOPE_SYS
	global_load_b64 v[14:15], v11, s[2:3]
	s_wait_loadcnt 0x2
	v_readfirstlane_b32 s16, v8
	v_readfirstlane_b32 s17, v9
	s_add_nc_u64 s[0:1], s[16:17], 1
	s_delay_alu instid0(SALU_CYCLE_1) | instskip(NEXT) | instid1(SALU_CYCLE_1)
	s_add_nc_u64 s[12:13], s[0:1], s[12:13]
	s_cmp_eq_u64 s[12:13], 0
	s_cselect_b32 s1, s1, s13
	s_cselect_b32 s0, s0, s12
	s_delay_alu instid0(SALU_CYCLE_1) | instskip(SKIP_1) | instid1(SALU_CYCLE_1)
	v_dual_mov_b32 v17, s1 :: v_dual_mov_b32 v16, s0
	s_and_b64 s[12:13], s[0:1], s[16:17]
	s_mul_u64 s[12:13], s[12:13], 24
	s_wait_loadcnt 0x0
	v_add_nc_u64_e32 v[8:9], s[12:13], v[14:15]
	global_store_b64 v[8:9], v[18:19], off
	global_wb scope:SCOPE_SYS
	s_wait_storecnt 0x0
	s_wait_xcnt 0x0
	global_atomic_cmpswap_b64 v[16:17], v11, v[16:19], s[2:3] offset:24 th:TH_ATOMIC_RETURN scope:SCOPE_SYS
	s_wait_loadcnt 0x0
	v_cmp_ne_u64_e32 vcc_lo, v[16:17], v[18:19]
	s_and_b32 exec_lo, exec_lo, vcc_lo
	s_cbranch_execz .LBB1_116
; %bb.190:                              ;   in Loop: Header=BB1_117 Depth=1
	s_mov_b32 s12, 0
.LBB1_191:                              ;   Parent Loop BB1_117 Depth=1
                                        ; =>  This Inner Loop Header: Depth=2
	v_dual_mov_b32 v14, s0 :: v_dual_mov_b32 v15, s1
	s_sleep 1
	global_store_b64 v[8:9], v[16:17], off
	global_wb scope:SCOPE_SYS
	s_wait_storecnt 0x0
	s_wait_xcnt 0x0
	global_atomic_cmpswap_b64 v[14:15], v11, v[14:17], s[2:3] offset:24 th:TH_ATOMIC_RETURN scope:SCOPE_SYS
	s_wait_loadcnt 0x0
	v_cmp_eq_u64_e32 vcc_lo, v[14:15], v[16:17]
	v_mov_b64_e32 v[16:17], v[14:15]
	s_or_b32 s12, vcc_lo, s12
	s_delay_alu instid0(SALU_CYCLE_1)
	s_and_not1_b32 exec_lo, exec_lo, s12
	s_cbranch_execnz .LBB1_191
	s_branch .LBB1_116
.LBB1_192:
	s_or_b32 exec_lo, exec_lo, s6
	s_branch .LBB1_114
.LBB1_193:
	v_readfirstlane_b32 s0, v48
	v_mov_b64_e32 v[8:9], 0
	s_delay_alu instid0(VALU_DEP_2)
	v_cmp_eq_u32_e64 s0, s0, v48
	s_and_saveexec_b32 s1, s0
	s_cbranch_execz .LBB1_199
; %bb.194:
	s_wait_loadcnt 0x0
	v_mov_b32_e32 v0, 0
	s_mov_b32 s4, exec_lo
	global_load_b64 v[10:11], v0, s[2:3] offset:24 scope:SCOPE_SYS
	s_wait_loadcnt 0x0
	global_inv scope:SCOPE_SYS
	s_clause 0x1
	global_load_b64 v[2:3], v0, s[2:3] offset:40
	global_load_b64 v[8:9], v0, s[2:3]
	s_wait_loadcnt 0x1
	v_and_b32_e32 v2, v2, v10
	v_and_b32_e32 v3, v3, v11
	s_delay_alu instid0(VALU_DEP_1) | instskip(SKIP_1) | instid1(VALU_DEP_1)
	v_mul_u64_e32 v[2:3], 24, v[2:3]
	s_wait_loadcnt 0x0
	v_add_nc_u64_e32 v[2:3], v[8:9], v[2:3]
	global_load_b64 v[8:9], v[2:3], off scope:SCOPE_SYS
	s_wait_xcnt 0x0
	s_wait_loadcnt 0x0
	global_atomic_cmpswap_b64 v[8:9], v0, v[8:11], s[2:3] offset:24 th:TH_ATOMIC_RETURN scope:SCOPE_SYS
	s_wait_loadcnt 0x0
	global_inv scope:SCOPE_SYS
	s_wait_xcnt 0x0
	v_cmpx_ne_u64_e64 v[8:9], v[10:11]
	s_cbranch_execz .LBB1_198
; %bb.195:
	s_mov_b32 s5, 0
.LBB1_196:                              ; =>This Inner Loop Header: Depth=1
	s_sleep 1
	s_clause 0x1
	global_load_b64 v[2:3], v0, s[2:3] offset:40
	global_load_b64 v[12:13], v0, s[2:3]
	v_mov_b64_e32 v[10:11], v[8:9]
	s_wait_loadcnt 0x1
	s_delay_alu instid0(VALU_DEP_1) | instskip(SKIP_1) | instid1(VALU_DEP_1)
	v_and_b32_e32 v1, v2, v10
	s_wait_loadcnt 0x0
	v_mad_nc_u64_u32 v[8:9], v1, 24, v[12:13]
	s_delay_alu instid0(VALU_DEP_3) | instskip(NEXT) | instid1(VALU_DEP_1)
	v_and_b32_e32 v1, v3, v11
	v_mad_u32 v9, v1, 24, v9
	global_load_b64 v[8:9], v[8:9], off scope:SCOPE_SYS
	s_wait_xcnt 0x0
	s_wait_loadcnt 0x0
	global_atomic_cmpswap_b64 v[8:9], v0, v[8:11], s[2:3] offset:24 th:TH_ATOMIC_RETURN scope:SCOPE_SYS
	s_wait_loadcnt 0x0
	global_inv scope:SCOPE_SYS
	v_cmp_eq_u64_e32 vcc_lo, v[8:9], v[10:11]
	s_or_b32 s5, vcc_lo, s5
	s_wait_xcnt 0x0
	s_and_not1_b32 exec_lo, exec_lo, s5
	s_cbranch_execnz .LBB1_196
; %bb.197:
	s_or_b32 exec_lo, exec_lo, s5
.LBB1_198:
	s_delay_alu instid0(SALU_CYCLE_1)
	s_or_b32 exec_lo, exec_lo, s4
.LBB1_199:
	s_delay_alu instid0(SALU_CYCLE_1)
	s_or_b32 exec_lo, exec_lo, s1
	v_readfirstlane_b32 s4, v8
	v_mov_b32_e32 v31, 0
	v_readfirstlane_b32 s5, v9
	s_mov_b32 s1, exec_lo
	global_load_b64 v[10:11], v31, s[2:3] offset:40
	s_wait_loadcnt 0x1
	global_load_b128 v[0:3], v31, s[2:3]
	s_wait_loadcnt 0x1
	v_and_b32_e32 v8, s4, v10
	v_and_b32_e32 v9, s5, v11
	s_delay_alu instid0(VALU_DEP_1) | instskip(SKIP_1) | instid1(VALU_DEP_1)
	v_mul_u64_e32 v[10:11], 24, v[8:9]
	s_wait_loadcnt 0x0
	v_add_nc_u64_e32 v[10:11], v[0:1], v[10:11]
	s_wait_xcnt 0x0
	s_and_saveexec_b32 s6, s0
	s_cbranch_execz .LBB1_201
; %bb.200:
	v_mov_b64_e32 v[14:15], 0x100000002
	v_dual_mov_b32 v12, s1 :: v_dual_mov_b32 v13, v31
	global_store_b128 v[10:11], v[12:15], off offset:8
.LBB1_201:
	s_wait_xcnt 0x0
	s_or_b32 exec_lo, exec_lo, s6
	v_lshlrev_b64_e32 v[8:9], 12, v[8:9]
	s_mov_b32 s12, 0
	v_and_or_b32 v6, 0xffffff1f, v6, 32
	s_mov_b32 s14, s12
	s_mov_b32 s15, s12
	;; [unrolled: 1-line block ×3, first 2 shown]
	v_mov_b64_e32 v[16:17], s[14:15]
	v_add_nc_u64_e32 v[12:13], v[2:3], v[8:9]
	v_mov_b64_e32 v[14:15], s[12:13]
	v_dual_mov_b32 v8, v31 :: v_dual_mov_b32 v9, v31
	s_delay_alu instid0(VALU_DEP_3) | instskip(NEXT) | instid1(VALU_DEP_4)
	v_readfirstlane_b32 s6, v12
	v_readfirstlane_b32 s7, v13
	s_clause 0x3
	global_store_b128 v30, v[6:9], s[6:7]
	global_store_b128 v30, v[14:17], s[6:7] offset:16
	global_store_b128 v30, v[14:17], s[6:7] offset:32
	;; [unrolled: 1-line block ×3, first 2 shown]
	s_wait_xcnt 0x0
	s_and_saveexec_b32 s1, s0
	s_cbranch_execz .LBB1_209
; %bb.202:
	v_dual_mov_b32 v8, 0 :: v_dual_mov_b32 v15, s5
	s_mov_b32 s6, exec_lo
	s_clause 0x1
	global_load_b64 v[16:17], v8, s[2:3] offset:32 scope:SCOPE_SYS
	global_load_b64 v[2:3], v8, s[2:3] offset:40
	s_wait_loadcnt 0x0
	v_dual_mov_b32 v14, s4 :: v_dual_bitop2_b32 v3, s5, v3 bitop3:0x40
	v_and_b32_e32 v2, s4, v2
	s_delay_alu instid0(VALU_DEP_1) | instskip(NEXT) | instid1(VALU_DEP_1)
	v_mul_u64_e32 v[2:3], 24, v[2:3]
	v_add_nc_u64_e32 v[6:7], v[0:1], v[2:3]
	global_store_b64 v[6:7], v[16:17], off
	global_wb scope:SCOPE_SYS
	s_wait_storecnt 0x0
	s_wait_xcnt 0x0
	global_atomic_cmpswap_b64 v[2:3], v8, v[14:17], s[2:3] offset:32 th:TH_ATOMIC_RETURN scope:SCOPE_SYS
	s_wait_loadcnt 0x0
	v_cmpx_ne_u64_e64 v[2:3], v[16:17]
	s_cbranch_execz .LBB1_205
; %bb.203:
	s_mov_b32 s7, 0
.LBB1_204:                              ; =>This Inner Loop Header: Depth=1
	v_dual_mov_b32 v0, s4 :: v_dual_mov_b32 v1, s5
	s_sleep 1
	global_store_b64 v[6:7], v[2:3], off
	global_wb scope:SCOPE_SYS
	s_wait_storecnt 0x0
	s_wait_xcnt 0x0
	global_atomic_cmpswap_b64 v[0:1], v8, v[0:3], s[2:3] offset:32 th:TH_ATOMIC_RETURN scope:SCOPE_SYS
	s_wait_loadcnt 0x0
	v_cmp_eq_u64_e32 vcc_lo, v[0:1], v[2:3]
	v_mov_b64_e32 v[2:3], v[0:1]
	s_or_b32 s7, vcc_lo, s7
	s_delay_alu instid0(SALU_CYCLE_1)
	s_and_not1_b32 exec_lo, exec_lo, s7
	s_cbranch_execnz .LBB1_204
.LBB1_205:
	s_or_b32 exec_lo, exec_lo, s6
	v_mov_b32_e32 v3, 0
	s_mov_b32 s7, exec_lo
	s_mov_b32 s6, exec_lo
	v_mbcnt_lo_u32_b32 v2, s7, 0
	global_load_b64 v[0:1], v3, s[2:3] offset:16
	s_wait_xcnt 0x0
	v_cmpx_eq_u32_e32 0, v2
	s_cbranch_execz .LBB1_207
; %bb.206:
	s_bcnt1_i32_b32 s7, s7
	s_delay_alu instid0(SALU_CYCLE_1)
	v_mov_b32_e32 v2, s7
	global_wb scope:SCOPE_SYS
	s_wait_loadcnt 0x0
	s_wait_storecnt 0x0
	global_atomic_add_u64 v[0:1], v[2:3], off offset:8 scope:SCOPE_SYS
.LBB1_207:
	s_wait_xcnt 0x0
	s_or_b32 exec_lo, exec_lo, s6
	s_wait_loadcnt 0x0
	global_load_b64 v[2:3], v[0:1], off offset:16
	s_wait_loadcnt 0x0
	v_cmp_eq_u64_e32 vcc_lo, 0, v[2:3]
	s_cbranch_vccnz .LBB1_209
; %bb.208:
	global_load_b32 v0, v[0:1], off offset:24
	s_wait_xcnt 0x0
	v_mov_b32_e32 v1, 0
	s_wait_loadcnt 0x0
	v_readfirstlane_b32 s6, v0
	global_wb scope:SCOPE_SYS
	s_wait_storecnt 0x0
	global_store_b64 v[2:3], v[0:1], off scope:SCOPE_SYS
	s_and_b32 m0, s6, 0xffffff
	s_sendmsg sendmsg(MSG_INTERRUPT)
.LBB1_209:
	s_wait_xcnt 0x0
	s_or_b32 exec_lo, exec_lo, s1
	v_add_nc_u64_e32 v[0:1], v[12:13], v[30:31]
	s_branch .LBB1_213
.LBB1_210:                              ;   in Loop: Header=BB1_213 Depth=1
	s_wait_xcnt 0x0
	s_or_b32 exec_lo, exec_lo, s1
	s_delay_alu instid0(VALU_DEP_1)
	v_readfirstlane_b32 s1, v2
	s_cmp_eq_u32 s1, 0
	s_cbranch_scc1 .LBB1_212
; %bb.211:                              ;   in Loop: Header=BB1_213 Depth=1
	s_sleep 1
	s_cbranch_execnz .LBB1_213
	s_branch .LBB1_216
.LBB1_212:
	s_branch .LBB1_216
.LBB1_213:                              ; =>This Inner Loop Header: Depth=1
	v_mov_b32_e32 v2, 1
	s_and_saveexec_b32 s1, s0
	s_cbranch_execz .LBB1_210
; %bb.214:                              ;   in Loop: Header=BB1_213 Depth=1
	global_load_b32 v2, v[10:11], off offset:20 scope:SCOPE_SYS
	s_wait_loadcnt 0x0
	global_inv scope:SCOPE_SYS
	v_and_b32_e32 v2, 1, v2
	s_branch .LBB1_210
.LBB1_215:
	s_branch .LBB1_249
.LBB1_216:
	global_load_b64 v[0:1], v[0:1], off
	s_wait_xcnt 0x0
	s_and_saveexec_b32 s6, s0
	s_cbranch_execz .LBB1_220
; %bb.217:
	v_mov_b32_e32 v10, 0
	s_clause 0x2
	global_load_b64 v[2:3], v10, s[2:3] offset:40
	global_load_b64 v[14:15], v10, s[2:3] offset:24 scope:SCOPE_SYS
	global_load_b64 v[6:7], v10, s[2:3]
	s_wait_loadcnt 0x2
	v_readfirstlane_b32 s10, v2
	v_readfirstlane_b32 s11, v3
	s_add_nc_u64 s[0:1], s[10:11], 1
	s_delay_alu instid0(SALU_CYCLE_1) | instskip(NEXT) | instid1(SALU_CYCLE_1)
	s_add_nc_u64 s[4:5], s[0:1], s[4:5]
	s_cmp_eq_u64 s[4:5], 0
	s_cselect_b32 s1, s1, s5
	s_cselect_b32 s0, s0, s4
	v_mov_b32_e32 v13, s1
	s_and_b64 s[4:5], s[0:1], s[10:11]
	v_mov_b32_e32 v12, s0
	s_mul_u64 s[4:5], s[4:5], 24
	s_wait_loadcnt 0x0
	v_add_nc_u64_e32 v[2:3], s[4:5], v[6:7]
	global_store_b64 v[2:3], v[14:15], off
	global_wb scope:SCOPE_SYS
	s_wait_storecnt 0x0
	s_wait_xcnt 0x0
	global_atomic_cmpswap_b64 v[8:9], v10, v[12:15], s[2:3] offset:24 th:TH_ATOMIC_RETURN scope:SCOPE_SYS
	s_wait_loadcnt 0x0
	v_cmp_ne_u64_e32 vcc_lo, v[8:9], v[14:15]
	s_and_b32 exec_lo, exec_lo, vcc_lo
	s_cbranch_execz .LBB1_220
; %bb.218:
	s_mov_b32 s4, 0
.LBB1_219:                              ; =>This Inner Loop Header: Depth=1
	v_dual_mov_b32 v6, s0 :: v_dual_mov_b32 v7, s1
	s_sleep 1
	global_store_b64 v[2:3], v[8:9], off
	global_wb scope:SCOPE_SYS
	s_wait_storecnt 0x0
	s_wait_xcnt 0x0
	global_atomic_cmpswap_b64 v[6:7], v10, v[6:9], s[2:3] offset:24 th:TH_ATOMIC_RETURN scope:SCOPE_SYS
	s_wait_loadcnt 0x0
	v_cmp_eq_u64_e32 vcc_lo, v[6:7], v[8:9]
	v_mov_b64_e32 v[8:9], v[6:7]
	s_or_b32 s4, vcc_lo, s4
	s_delay_alu instid0(SALU_CYCLE_1)
	s_and_not1_b32 exec_lo, exec_lo, s4
	s_cbranch_execnz .LBB1_219
.LBB1_220:
	s_or_b32 exec_lo, exec_lo, s6
	s_get_pc_i64 s[4:5]
	s_add_nc_u64 s[4:5], s[4:5], .str.4@rel64+4
	s_delay_alu instid0(SALU_CYCLE_1)
	s_cmp_lg_u64 s[4:5], 0
	s_cbranch_scc1 .LBB1_115
.LBB1_221:
                                        ; implicit-def: $vgpr6_vgpr7
	s_cbranch_execz .LBB1_249
; %bb.222:
	v_readfirstlane_b32 s0, v48
	v_mov_b64_e32 v[2:3], 0
	s_delay_alu instid0(VALU_DEP_2)
	v_cmp_eq_u32_e64 s0, s0, v48
	s_and_saveexec_b32 s1, s0
	s_cbranch_execz .LBB1_228
; %bb.223:
	s_wait_loadcnt 0x0
	v_mov_b32_e32 v6, 0
	s_mov_b32 s4, exec_lo
	global_load_b64 v[10:11], v6, s[2:3] offset:24 scope:SCOPE_SYS
	s_wait_loadcnt 0x0
	global_inv scope:SCOPE_SYS
	s_clause 0x1
	global_load_b64 v[2:3], v6, s[2:3] offset:40
	global_load_b64 v[8:9], v6, s[2:3]
	s_wait_loadcnt 0x1
	v_and_b32_e32 v2, v2, v10
	v_and_b32_e32 v3, v3, v11
	s_delay_alu instid0(VALU_DEP_1) | instskip(SKIP_1) | instid1(VALU_DEP_1)
	v_mul_u64_e32 v[2:3], 24, v[2:3]
	s_wait_loadcnt 0x0
	v_add_nc_u64_e32 v[2:3], v[8:9], v[2:3]
	global_load_b64 v[8:9], v[2:3], off scope:SCOPE_SYS
	s_wait_xcnt 0x0
	s_wait_loadcnt 0x0
	global_atomic_cmpswap_b64 v[2:3], v6, v[8:11], s[2:3] offset:24 th:TH_ATOMIC_RETURN scope:SCOPE_SYS
	s_wait_loadcnt 0x0
	global_inv scope:SCOPE_SYS
	s_wait_xcnt 0x0
	v_cmpx_ne_u64_e64 v[2:3], v[10:11]
	s_cbranch_execz .LBB1_227
; %bb.224:
	s_mov_b32 s5, 0
.LBB1_225:                              ; =>This Inner Loop Header: Depth=1
	s_sleep 1
	s_clause 0x1
	global_load_b64 v[8:9], v6, s[2:3] offset:40
	global_load_b64 v[12:13], v6, s[2:3]
	v_mov_b64_e32 v[10:11], v[2:3]
	s_wait_loadcnt 0x1
	s_delay_alu instid0(VALU_DEP_1) | instskip(NEXT) | instid1(VALU_DEP_2)
	v_and_b32_e32 v2, v8, v10
	v_and_b32_e32 v7, v9, v11
	s_wait_loadcnt 0x0
	s_delay_alu instid0(VALU_DEP_2) | instskip(NEXT) | instid1(VALU_DEP_1)
	v_mad_nc_u64_u32 v[2:3], v2, 24, v[12:13]
	v_mad_u32 v3, v7, 24, v3
	global_load_b64 v[8:9], v[2:3], off scope:SCOPE_SYS
	s_wait_xcnt 0x0
	s_wait_loadcnt 0x0
	global_atomic_cmpswap_b64 v[2:3], v6, v[8:11], s[2:3] offset:24 th:TH_ATOMIC_RETURN scope:SCOPE_SYS
	s_wait_loadcnt 0x0
	global_inv scope:SCOPE_SYS
	v_cmp_eq_u64_e32 vcc_lo, v[2:3], v[10:11]
	s_or_b32 s5, vcc_lo, s5
	s_wait_xcnt 0x0
	s_and_not1_b32 exec_lo, exec_lo, s5
	s_cbranch_execnz .LBB1_225
; %bb.226:
	s_or_b32 exec_lo, exec_lo, s5
.LBB1_227:
	s_delay_alu instid0(SALU_CYCLE_1)
	s_or_b32 exec_lo, exec_lo, s4
.LBB1_228:
	s_delay_alu instid0(SALU_CYCLE_1)
	s_or_b32 exec_lo, exec_lo, s1
	v_readfirstlane_b32 s4, v2
	v_mov_b32_e32 v31, 0
	v_readfirstlane_b32 s5, v3
	s_mov_b32 s1, exec_lo
	global_load_b64 v[10:11], v31, s[2:3] offset:40
	s_wait_loadcnt 0x1
	global_load_b128 v[6:9], v31, s[2:3]
	s_wait_loadcnt 0x1
	v_and_b32_e32 v2, s4, v10
	v_and_b32_e32 v3, s5, v11
	s_delay_alu instid0(VALU_DEP_1) | instskip(SKIP_1) | instid1(VALU_DEP_1)
	v_mul_u64_e32 v[10:11], 24, v[2:3]
	s_wait_loadcnt 0x0
	v_add_nc_u64_e32 v[10:11], v[6:7], v[10:11]
	s_wait_xcnt 0x0
	s_and_saveexec_b32 s6, s0
	s_cbranch_execz .LBB1_230
; %bb.229:
	v_mov_b64_e32 v[14:15], 0x100000002
	v_dual_mov_b32 v12, s1 :: v_dual_mov_b32 v13, v31
	global_store_b128 v[10:11], v[12:15], off offset:8
.LBB1_230:
	s_wait_xcnt 0x0
	s_or_b32 exec_lo, exec_lo, s6
	v_lshlrev_b64_e32 v[2:3], 12, v[2:3]
	s_mov_b32 s12, 0
	v_and_or_b32 v0, 0xffffff1f, v0, 32
	s_mov_b32 s13, s12
	s_mov_b32 s14, s12
	;; [unrolled: 1-line block ×3, first 2 shown]
	v_mov_b64_e32 v[12:13], s[12:13]
	v_add_nc_u64_e32 v[8:9], v[8:9], v[2:3]
	v_mov_b64_e32 v[14:15], s[14:15]
	v_dual_mov_b32 v2, v31 :: v_dual_mov_b32 v3, v31
	s_delay_alu instid0(VALU_DEP_3) | instskip(NEXT) | instid1(VALU_DEP_4)
	v_readfirstlane_b32 s6, v8
	v_readfirstlane_b32 s7, v9
	s_clause 0x3
	global_store_b128 v30, v[0:3], s[6:7]
	global_store_b128 v30, v[12:15], s[6:7] offset:16
	global_store_b128 v30, v[12:15], s[6:7] offset:32
	;; [unrolled: 1-line block ×3, first 2 shown]
	s_wait_xcnt 0x0
	s_and_saveexec_b32 s1, s0
	s_cbranch_execz .LBB1_238
; %bb.231:
	v_dual_mov_b32 v12, 0 :: v_dual_mov_b32 v15, s5
	s_mov_b32 s6, exec_lo
	s_clause 0x1
	global_load_b64 v[16:17], v12, s[2:3] offset:32 scope:SCOPE_SYS
	global_load_b64 v[0:1], v12, s[2:3] offset:40
	s_wait_loadcnt 0x0
	v_dual_mov_b32 v14, s4 :: v_dual_bitop2_b32 v1, s5, v1 bitop3:0x40
	v_and_b32_e32 v0, s4, v0
	s_delay_alu instid0(VALU_DEP_1) | instskip(NEXT) | instid1(VALU_DEP_1)
	v_mul_u64_e32 v[0:1], 24, v[0:1]
	v_add_nc_u64_e32 v[6:7], v[6:7], v[0:1]
	global_store_b64 v[6:7], v[16:17], off
	global_wb scope:SCOPE_SYS
	s_wait_storecnt 0x0
	s_wait_xcnt 0x0
	global_atomic_cmpswap_b64 v[2:3], v12, v[14:17], s[2:3] offset:32 th:TH_ATOMIC_RETURN scope:SCOPE_SYS
	s_wait_loadcnt 0x0
	v_cmpx_ne_u64_e64 v[2:3], v[16:17]
	s_cbranch_execz .LBB1_234
; %bb.232:
	s_mov_b32 s7, 0
.LBB1_233:                              ; =>This Inner Loop Header: Depth=1
	v_dual_mov_b32 v0, s4 :: v_dual_mov_b32 v1, s5
	s_sleep 1
	global_store_b64 v[6:7], v[2:3], off
	global_wb scope:SCOPE_SYS
	s_wait_storecnt 0x0
	s_wait_xcnt 0x0
	global_atomic_cmpswap_b64 v[0:1], v12, v[0:3], s[2:3] offset:32 th:TH_ATOMIC_RETURN scope:SCOPE_SYS
	s_wait_loadcnt 0x0
	v_cmp_eq_u64_e32 vcc_lo, v[0:1], v[2:3]
	v_mov_b64_e32 v[2:3], v[0:1]
	s_or_b32 s7, vcc_lo, s7
	s_delay_alu instid0(SALU_CYCLE_1)
	s_and_not1_b32 exec_lo, exec_lo, s7
	s_cbranch_execnz .LBB1_233
.LBB1_234:
	s_or_b32 exec_lo, exec_lo, s6
	v_mov_b32_e32 v3, 0
	s_mov_b32 s7, exec_lo
	s_mov_b32 s6, exec_lo
	v_mbcnt_lo_u32_b32 v2, s7, 0
	global_load_b64 v[0:1], v3, s[2:3] offset:16
	s_wait_xcnt 0x0
	v_cmpx_eq_u32_e32 0, v2
	s_cbranch_execz .LBB1_236
; %bb.235:
	s_bcnt1_i32_b32 s7, s7
	s_delay_alu instid0(SALU_CYCLE_1)
	v_mov_b32_e32 v2, s7
	global_wb scope:SCOPE_SYS
	s_wait_loadcnt 0x0
	s_wait_storecnt 0x0
	global_atomic_add_u64 v[0:1], v[2:3], off offset:8 scope:SCOPE_SYS
.LBB1_236:
	s_wait_xcnt 0x0
	s_or_b32 exec_lo, exec_lo, s6
	s_wait_loadcnt 0x0
	global_load_b64 v[2:3], v[0:1], off offset:16
	s_wait_loadcnt 0x0
	v_cmp_eq_u64_e32 vcc_lo, 0, v[2:3]
	s_cbranch_vccnz .LBB1_238
; %bb.237:
	global_load_b32 v0, v[0:1], off offset:24
	s_wait_xcnt 0x0
	v_mov_b32_e32 v1, 0
	s_wait_loadcnt 0x0
	v_readfirstlane_b32 s6, v0
	global_wb scope:SCOPE_SYS
	s_wait_storecnt 0x0
	global_store_b64 v[2:3], v[0:1], off scope:SCOPE_SYS
	s_and_b32 m0, s6, 0xffffff
	s_sendmsg sendmsg(MSG_INTERRUPT)
.LBB1_238:
	s_wait_xcnt 0x0
	s_or_b32 exec_lo, exec_lo, s1
	v_add_nc_u64_e32 v[0:1], v[8:9], v[30:31]
	s_branch .LBB1_242
.LBB1_239:                              ;   in Loop: Header=BB1_242 Depth=1
	s_wait_xcnt 0x0
	s_or_b32 exec_lo, exec_lo, s1
	s_delay_alu instid0(VALU_DEP_1)
	v_readfirstlane_b32 s1, v2
	s_cmp_eq_u32 s1, 0
	s_cbranch_scc1 .LBB1_241
; %bb.240:                              ;   in Loop: Header=BB1_242 Depth=1
	s_sleep 1
	s_cbranch_execnz .LBB1_242
	s_branch .LBB1_244
.LBB1_241:
	s_branch .LBB1_244
.LBB1_242:                              ; =>This Inner Loop Header: Depth=1
	v_mov_b32_e32 v2, 1
	s_and_saveexec_b32 s1, s0
	s_cbranch_execz .LBB1_239
; %bb.243:                              ;   in Loop: Header=BB1_242 Depth=1
	global_load_b32 v2, v[10:11], off offset:20 scope:SCOPE_SYS
	s_wait_loadcnt 0x0
	global_inv scope:SCOPE_SYS
	v_and_b32_e32 v2, 1, v2
	s_branch .LBB1_239
.LBB1_244:
	global_load_b64 v[6:7], v[0:1], off
	s_wait_xcnt 0x0
	s_and_saveexec_b32 s6, s0
	s_cbranch_execz .LBB1_248
; %bb.245:
	v_mov_b32_e32 v10, 0
	s_clause 0x2
	global_load_b64 v[0:1], v10, s[2:3] offset:40
	global_load_b64 v[14:15], v10, s[2:3] offset:24 scope:SCOPE_SYS
	global_load_b64 v[2:3], v10, s[2:3]
	s_wait_loadcnt 0x2
	v_readfirstlane_b32 s10, v0
	v_readfirstlane_b32 s11, v1
	s_add_nc_u64 s[0:1], s[10:11], 1
	s_delay_alu instid0(SALU_CYCLE_1) | instskip(NEXT) | instid1(SALU_CYCLE_1)
	s_add_nc_u64 s[4:5], s[0:1], s[4:5]
	s_cmp_eq_u64 s[4:5], 0
	s_cselect_b32 s1, s1, s5
	s_cselect_b32 s0, s0, s4
	v_mov_b32_e32 v13, s1
	s_and_b64 s[4:5], s[0:1], s[10:11]
	v_mov_b32_e32 v12, s0
	s_mul_u64 s[4:5], s[4:5], 24
	s_wait_loadcnt 0x0
	v_add_nc_u64_e32 v[8:9], s[4:5], v[2:3]
	global_store_b64 v[8:9], v[14:15], off
	global_wb scope:SCOPE_SYS
	s_wait_storecnt 0x0
	s_wait_xcnt 0x0
	global_atomic_cmpswap_b64 v[2:3], v10, v[12:15], s[2:3] offset:24 th:TH_ATOMIC_RETURN scope:SCOPE_SYS
	s_wait_loadcnt 0x0
	v_cmp_ne_u64_e32 vcc_lo, v[2:3], v[14:15]
	s_and_b32 exec_lo, exec_lo, vcc_lo
	s_cbranch_execz .LBB1_248
; %bb.246:
	s_mov_b32 s4, 0
.LBB1_247:                              ; =>This Inner Loop Header: Depth=1
	v_dual_mov_b32 v0, s0 :: v_dual_mov_b32 v1, s1
	s_sleep 1
	global_store_b64 v[8:9], v[2:3], off
	global_wb scope:SCOPE_SYS
	s_wait_storecnt 0x0
	s_wait_xcnt 0x0
	global_atomic_cmpswap_b64 v[0:1], v10, v[0:3], s[2:3] offset:24 th:TH_ATOMIC_RETURN scope:SCOPE_SYS
	s_wait_loadcnt 0x0
	v_cmp_eq_u64_e32 vcc_lo, v[0:1], v[2:3]
	v_mov_b64_e32 v[2:3], v[0:1]
	s_or_b32 s4, vcc_lo, s4
	s_delay_alu instid0(SALU_CYCLE_1)
	s_and_not1_b32 exec_lo, exec_lo, s4
	s_cbranch_execnz .LBB1_247
.LBB1_248:
	s_or_b32 exec_lo, exec_lo, s6
.LBB1_249:
	v_readfirstlane_b32 s0, v48
	v_mov_b64_e32 v[8:9], 0
	s_delay_alu instid0(VALU_DEP_2)
	v_cmp_eq_u32_e64 s0, s0, v48
	s_and_saveexec_b32 s1, s0
	s_cbranch_execz .LBB1_255
; %bb.250:
	s_wait_loadcnt 0x0
	v_mov_b32_e32 v0, 0
	s_mov_b32 s4, exec_lo
	global_load_b64 v[10:11], v0, s[2:3] offset:24 scope:SCOPE_SYS
	s_wait_loadcnt 0x0
	global_inv scope:SCOPE_SYS
	s_clause 0x1
	global_load_b64 v[2:3], v0, s[2:3] offset:40
	global_load_b64 v[8:9], v0, s[2:3]
	s_wait_loadcnt 0x1
	v_and_b32_e32 v2, v2, v10
	v_and_b32_e32 v3, v3, v11
	s_delay_alu instid0(VALU_DEP_1) | instskip(SKIP_1) | instid1(VALU_DEP_1)
	v_mul_u64_e32 v[2:3], 24, v[2:3]
	s_wait_loadcnt 0x0
	v_add_nc_u64_e32 v[2:3], v[8:9], v[2:3]
	global_load_b64 v[8:9], v[2:3], off scope:SCOPE_SYS
	s_wait_xcnt 0x0
	s_wait_loadcnt 0x0
	global_atomic_cmpswap_b64 v[8:9], v0, v[8:11], s[2:3] offset:24 th:TH_ATOMIC_RETURN scope:SCOPE_SYS
	s_wait_loadcnt 0x0
	global_inv scope:SCOPE_SYS
	s_wait_xcnt 0x0
	v_cmpx_ne_u64_e64 v[8:9], v[10:11]
	s_cbranch_execz .LBB1_254
; %bb.251:
	s_mov_b32 s5, 0
.LBB1_252:                              ; =>This Inner Loop Header: Depth=1
	s_sleep 1
	s_clause 0x1
	global_load_b64 v[2:3], v0, s[2:3] offset:40
	global_load_b64 v[12:13], v0, s[2:3]
	v_mov_b64_e32 v[10:11], v[8:9]
	s_wait_loadcnt 0x1
	s_delay_alu instid0(VALU_DEP_1) | instskip(SKIP_1) | instid1(VALU_DEP_1)
	v_and_b32_e32 v1, v2, v10
	s_wait_loadcnt 0x0
	v_mad_nc_u64_u32 v[8:9], v1, 24, v[12:13]
	s_delay_alu instid0(VALU_DEP_3) | instskip(NEXT) | instid1(VALU_DEP_1)
	v_and_b32_e32 v1, v3, v11
	v_mad_u32 v9, v1, 24, v9
	global_load_b64 v[8:9], v[8:9], off scope:SCOPE_SYS
	s_wait_xcnt 0x0
	s_wait_loadcnt 0x0
	global_atomic_cmpswap_b64 v[8:9], v0, v[8:11], s[2:3] offset:24 th:TH_ATOMIC_RETURN scope:SCOPE_SYS
	s_wait_loadcnt 0x0
	global_inv scope:SCOPE_SYS
	v_cmp_eq_u64_e32 vcc_lo, v[8:9], v[10:11]
	s_or_b32 s5, vcc_lo, s5
	s_wait_xcnt 0x0
	s_and_not1_b32 exec_lo, exec_lo, s5
	s_cbranch_execnz .LBB1_252
; %bb.253:
	s_or_b32 exec_lo, exec_lo, s5
.LBB1_254:
	s_delay_alu instid0(SALU_CYCLE_1)
	s_or_b32 exec_lo, exec_lo, s4
.LBB1_255:
	s_delay_alu instid0(SALU_CYCLE_1)
	s_or_b32 exec_lo, exec_lo, s1
	v_readfirstlane_b32 s4, v8
	v_mov_b32_e32 v31, 0
	v_readfirstlane_b32 s5, v9
	s_mov_b32 s1, exec_lo
	global_load_b64 v[10:11], v31, s[2:3] offset:40
	s_wait_loadcnt 0x1
	global_load_b128 v[0:3], v31, s[2:3]
	s_wait_loadcnt 0x1
	v_and_b32_e32 v8, s4, v10
	v_and_b32_e32 v9, s5, v11
	s_delay_alu instid0(VALU_DEP_1) | instskip(SKIP_1) | instid1(VALU_DEP_1)
	v_mul_u64_e32 v[10:11], 24, v[8:9]
	s_wait_loadcnt 0x0
	v_add_nc_u64_e32 v[10:11], v[0:1], v[10:11]
	s_wait_xcnt 0x0
	s_and_saveexec_b32 s6, s0
	s_cbranch_execz .LBB1_257
; %bb.256:
	v_mov_b64_e32 v[14:15], 0x100000002
	v_dual_mov_b32 v12, s1 :: v_dual_mov_b32 v13, v31
	global_store_b128 v[10:11], v[12:15], off offset:8
.LBB1_257:
	s_wait_xcnt 0x0
	s_or_b32 exec_lo, exec_lo, s6
	v_lshlrev_b64_e32 v[8:9], 12, v[8:9]
	s_mov_b32 s12, 0
	v_and_or_b32 v6, 0xffffff1f, v6, 32
	s_mov_b32 s14, s12
	s_mov_b32 s15, s12
	s_mov_b32 s13, s12
	v_mov_b64_e32 v[16:17], s[14:15]
	v_add_nc_u64_e32 v[12:13], v[2:3], v[8:9]
	v_mov_b64_e32 v[14:15], s[12:13]
	v_dual_mov_b32 v8, 0x331 :: v_dual_mov_b32 v9, v31
	s_delay_alu instid0(VALU_DEP_3) | instskip(NEXT) | instid1(VALU_DEP_4)
	v_readfirstlane_b32 s6, v12
	v_readfirstlane_b32 s7, v13
	s_clause 0x3
	global_store_b128 v30, v[6:9], s[6:7]
	global_store_b128 v30, v[14:17], s[6:7] offset:16
	global_store_b128 v30, v[14:17], s[6:7] offset:32
	;; [unrolled: 1-line block ×3, first 2 shown]
	s_wait_xcnt 0x0
	s_and_saveexec_b32 s1, s0
	s_cbranch_execz .LBB1_265
; %bb.258:
	v_dual_mov_b32 v8, 0 :: v_dual_mov_b32 v15, s5
	s_mov_b32 s6, exec_lo
	s_clause 0x1
	global_load_b64 v[16:17], v8, s[2:3] offset:32 scope:SCOPE_SYS
	global_load_b64 v[2:3], v8, s[2:3] offset:40
	s_wait_loadcnt 0x0
	v_dual_mov_b32 v14, s4 :: v_dual_bitop2_b32 v3, s5, v3 bitop3:0x40
	v_and_b32_e32 v2, s4, v2
	s_delay_alu instid0(VALU_DEP_1) | instskip(NEXT) | instid1(VALU_DEP_1)
	v_mul_u64_e32 v[2:3], 24, v[2:3]
	v_add_nc_u64_e32 v[6:7], v[0:1], v[2:3]
	global_store_b64 v[6:7], v[16:17], off
	global_wb scope:SCOPE_SYS
	s_wait_storecnt 0x0
	s_wait_xcnt 0x0
	global_atomic_cmpswap_b64 v[2:3], v8, v[14:17], s[2:3] offset:32 th:TH_ATOMIC_RETURN scope:SCOPE_SYS
	s_wait_loadcnt 0x0
	v_cmpx_ne_u64_e64 v[2:3], v[16:17]
	s_cbranch_execz .LBB1_261
; %bb.259:
	s_mov_b32 s7, 0
.LBB1_260:                              ; =>This Inner Loop Header: Depth=1
	v_dual_mov_b32 v0, s4 :: v_dual_mov_b32 v1, s5
	s_sleep 1
	global_store_b64 v[6:7], v[2:3], off
	global_wb scope:SCOPE_SYS
	s_wait_storecnt 0x0
	s_wait_xcnt 0x0
	global_atomic_cmpswap_b64 v[0:1], v8, v[0:3], s[2:3] offset:32 th:TH_ATOMIC_RETURN scope:SCOPE_SYS
	s_wait_loadcnt 0x0
	v_cmp_eq_u64_e32 vcc_lo, v[0:1], v[2:3]
	v_mov_b64_e32 v[2:3], v[0:1]
	s_or_b32 s7, vcc_lo, s7
	s_delay_alu instid0(SALU_CYCLE_1)
	s_and_not1_b32 exec_lo, exec_lo, s7
	s_cbranch_execnz .LBB1_260
.LBB1_261:
	s_or_b32 exec_lo, exec_lo, s6
	v_mov_b32_e32 v3, 0
	s_mov_b32 s7, exec_lo
	s_mov_b32 s6, exec_lo
	v_mbcnt_lo_u32_b32 v2, s7, 0
	global_load_b64 v[0:1], v3, s[2:3] offset:16
	s_wait_xcnt 0x0
	v_cmpx_eq_u32_e32 0, v2
	s_cbranch_execz .LBB1_263
; %bb.262:
	s_bcnt1_i32_b32 s7, s7
	s_delay_alu instid0(SALU_CYCLE_1)
	v_mov_b32_e32 v2, s7
	global_wb scope:SCOPE_SYS
	s_wait_loadcnt 0x0
	s_wait_storecnt 0x0
	global_atomic_add_u64 v[0:1], v[2:3], off offset:8 scope:SCOPE_SYS
.LBB1_263:
	s_wait_xcnt 0x0
	s_or_b32 exec_lo, exec_lo, s6
	s_wait_loadcnt 0x0
	global_load_b64 v[2:3], v[0:1], off offset:16
	s_wait_loadcnt 0x0
	v_cmp_eq_u64_e32 vcc_lo, 0, v[2:3]
	s_cbranch_vccnz .LBB1_265
; %bb.264:
	global_load_b32 v0, v[0:1], off offset:24
	s_wait_xcnt 0x0
	v_mov_b32_e32 v1, 0
	s_wait_loadcnt 0x0
	v_readfirstlane_b32 s6, v0
	global_wb scope:SCOPE_SYS
	s_wait_storecnt 0x0
	global_store_b64 v[2:3], v[0:1], off scope:SCOPE_SYS
	s_and_b32 m0, s6, 0xffffff
	s_sendmsg sendmsg(MSG_INTERRUPT)
.LBB1_265:
	s_wait_xcnt 0x0
	s_or_b32 exec_lo, exec_lo, s1
	v_add_nc_u64_e32 v[0:1], v[12:13], v[30:31]
	s_branch .LBB1_269
.LBB1_266:                              ;   in Loop: Header=BB1_269 Depth=1
	s_wait_xcnt 0x0
	s_or_b32 exec_lo, exec_lo, s1
	s_delay_alu instid0(VALU_DEP_1)
	v_readfirstlane_b32 s1, v2
	s_cmp_eq_u32 s1, 0
	s_cbranch_scc1 .LBB1_268
; %bb.267:                              ;   in Loop: Header=BB1_269 Depth=1
	s_sleep 1
	s_cbranch_execnz .LBB1_269
	s_branch .LBB1_271
.LBB1_268:
	s_branch .LBB1_271
.LBB1_269:                              ; =>This Inner Loop Header: Depth=1
	v_mov_b32_e32 v2, 1
	s_and_saveexec_b32 s1, s0
	s_cbranch_execz .LBB1_266
; %bb.270:                              ;   in Loop: Header=BB1_269 Depth=1
	global_load_b32 v2, v[10:11], off offset:20 scope:SCOPE_SYS
	s_wait_loadcnt 0x0
	global_inv scope:SCOPE_SYS
	v_and_b32_e32 v2, 1, v2
	s_branch .LBB1_266
.LBB1_271:
	global_load_b64 v[0:1], v[0:1], off
	s_wait_xcnt 0x0
	s_and_saveexec_b32 s6, s0
	s_cbranch_execz .LBB1_275
; %bb.272:
	v_mov_b32_e32 v10, 0
	s_clause 0x2
	global_load_b64 v[2:3], v10, s[2:3] offset:40
	global_load_b64 v[14:15], v10, s[2:3] offset:24 scope:SCOPE_SYS
	global_load_b64 v[6:7], v10, s[2:3]
	s_wait_loadcnt 0x2
	v_readfirstlane_b32 s10, v2
	v_readfirstlane_b32 s11, v3
	s_add_nc_u64 s[0:1], s[10:11], 1
	s_delay_alu instid0(SALU_CYCLE_1) | instskip(NEXT) | instid1(SALU_CYCLE_1)
	s_add_nc_u64 s[4:5], s[0:1], s[4:5]
	s_cmp_eq_u64 s[4:5], 0
	s_cselect_b32 s1, s1, s5
	s_cselect_b32 s0, s0, s4
	v_mov_b32_e32 v13, s1
	s_and_b64 s[4:5], s[0:1], s[10:11]
	v_mov_b32_e32 v12, s0
	s_mul_u64 s[4:5], s[4:5], 24
	s_wait_loadcnt 0x0
	v_add_nc_u64_e32 v[2:3], s[4:5], v[6:7]
	global_store_b64 v[2:3], v[14:15], off
	global_wb scope:SCOPE_SYS
	s_wait_storecnt 0x0
	s_wait_xcnt 0x0
	global_atomic_cmpswap_b64 v[8:9], v10, v[12:15], s[2:3] offset:24 th:TH_ATOMIC_RETURN scope:SCOPE_SYS
	s_wait_loadcnt 0x0
	v_cmp_ne_u64_e32 vcc_lo, v[8:9], v[14:15]
	s_and_b32 exec_lo, exec_lo, vcc_lo
	s_cbranch_execz .LBB1_275
; %bb.273:
	s_mov_b32 s4, 0
.LBB1_274:                              ; =>This Inner Loop Header: Depth=1
	v_dual_mov_b32 v6, s0 :: v_dual_mov_b32 v7, s1
	s_sleep 1
	global_store_b64 v[2:3], v[8:9], off
	global_wb scope:SCOPE_SYS
	s_wait_storecnt 0x0
	s_wait_xcnt 0x0
	global_atomic_cmpswap_b64 v[6:7], v10, v[6:9], s[2:3] offset:24 th:TH_ATOMIC_RETURN scope:SCOPE_SYS
	s_wait_loadcnt 0x0
	v_cmp_eq_u64_e32 vcc_lo, v[6:7], v[8:9]
	v_mov_b64_e32 v[8:9], v[6:7]
	s_or_b32 s4, vcc_lo, s4
	s_delay_alu instid0(SALU_CYCLE_1)
	s_and_not1_b32 exec_lo, exec_lo, s4
	s_cbranch_execnz .LBB1_274
.LBB1_275:
	s_or_b32 exec_lo, exec_lo, s6
	v_mov_b64_e32 v[2:3], v[4:5]
	s_mov_b32 s0, 0
.LBB1_276:                              ; =>This Inner Loop Header: Depth=1
	global_load_u8 v6, v[2:3], off
	s_wait_xcnt 0x0
	v_add_nc_u64_e32 v[2:3], 1, v[2:3]
	s_wait_loadcnt 0x0
	v_cmp_eq_u16_e32 vcc_lo, 0, v6
	s_or_b32 s0, vcc_lo, s0
	s_delay_alu instid0(SALU_CYCLE_1)
	s_and_not1_b32 exec_lo, exec_lo, s0
	s_cbranch_execnz .LBB1_276
; %bb.277:
	s_or_b32 exec_lo, exec_lo, s0
	s_delay_alu instid0(SALU_CYCLE_1)
	s_mov_b32 s0, exec_lo
	v_cmpx_ne_u64_e32 0, v[4:5]
	s_xor_b32 s6, exec_lo, s0
	s_cbranch_execz .LBB1_363
; %bb.278:
	v_dual_mov_b32 v31, 0 :: v_dual_sub_nc_u32 v26, v2, v4
	v_mov_b64_e32 v[8:9], 0x100000002
	v_and_b32_e32 v28, 2, v0
	s_delay_alu instid0(VALU_DEP_3)
	v_dual_ashrrev_i32 v27, 31, v26 :: v_dual_bitop2_b32 v0, -3, v0 bitop3:0x40
	s_mov_b32 s10, 0
	s_mov_b32 s7, 0
	s_branch .LBB1_280
.LBB1_279:                              ;   in Loop: Header=BB1_280 Depth=1
	s_or_b32 exec_lo, exec_lo, s11
	v_sub_nc_u64_e32 v[26:27], v[26:27], v[32:33]
	v_add_nc_u64_e32 v[4:5], v[4:5], v[32:33]
	s_delay_alu instid0(VALU_DEP_2) | instskip(SKIP_1) | instid1(SALU_CYCLE_1)
	v_cmp_eq_u64_e32 vcc_lo, 0, v[26:27]
	s_or_b32 s7, vcc_lo, s7
	s_and_not1_b32 exec_lo, exec_lo, s7
	s_cbranch_execz .LBB1_362
.LBB1_280:                              ; =>This Loop Header: Depth=1
                                        ;     Child Loop BB1_283 Depth 2
                                        ;     Child Loop BB1_291 Depth 2
	;; [unrolled: 1-line block ×11, first 2 shown]
	s_delay_alu instid0(VALU_DEP_1) | instskip(NEXT) | instid1(VALU_DEP_3)
	v_min_u64 v[32:33], v[26:27], 56
	v_add_nc_u64_e32 v[12:13], 8, v[4:5]
	s_mov_b32 s0, exec_lo
	v_cmpx_gt_u64_e32 8, v[26:27]
	s_xor_b32 s4, exec_lo, s0
	s_cbranch_execz .LBB1_286
; %bb.281:                              ;   in Loop: Header=BB1_280 Depth=1
	v_mov_b64_e32 v[2:3], 0
	s_mov_b32 s5, exec_lo
	v_cmpx_ne_u64_e32 0, v[26:27]
	s_cbranch_execz .LBB1_285
; %bb.282:                              ;   in Loop: Header=BB1_280 Depth=1
	v_mov_b64_e32 v[2:3], 0
	v_mov_b64_e32 v[10:11], v[4:5]
	v_lshlrev_b32_e32 v6, 3, v32
	s_mov_b64 s[0:1], 0
	s_mov_b32 s11, 0
.LBB1_283:                              ;   Parent Loop BB1_280 Depth=1
                                        ; =>  This Inner Loop Header: Depth=2
	global_load_u8 v7, v[10:11], off
	v_mov_b32_e32 v13, s10
	s_wait_xcnt 0x0
	v_add_nc_u64_e32 v[10:11], 1, v[10:11]
	s_wait_loadcnt 0x0
	v_and_b32_e32 v12, 0xffff, v7
	s_delay_alu instid0(VALU_DEP_1) | instskip(SKIP_1) | instid1(SALU_CYCLE_1)
	v_lshlrev_b64_e32 v[12:13], s0, v[12:13]
	s_add_nc_u64 s[0:1], s[0:1], 8
	v_cmp_eq_u32_e32 vcc_lo, s0, v6
	s_delay_alu instid0(VALU_DEP_2) | instskip(NEXT) | instid1(VALU_DEP_3)
	v_or_b32_e32 v3, v13, v3
	v_or_b32_e32 v2, v12, v2
	s_or_b32 s11, vcc_lo, s11
	s_delay_alu instid0(SALU_CYCLE_1)
	s_and_not1_b32 exec_lo, exec_lo, s11
	s_cbranch_execnz .LBB1_283
; %bb.284:                              ;   in Loop: Header=BB1_280 Depth=1
	s_or_b32 exec_lo, exec_lo, s11
.LBB1_285:                              ;   in Loop: Header=BB1_280 Depth=1
	s_delay_alu instid0(SALU_CYCLE_1)
	s_or_b32 exec_lo, exec_lo, s5
	v_mov_b64_e32 v[12:13], v[4:5]
.LBB1_286:                              ;   in Loop: Header=BB1_280 Depth=1
	s_or_saveexec_b32 s0, s4
	v_mov_b32_e32 v14, 0
	s_xor_b32 exec_lo, exec_lo, s0
	s_cbranch_execz .LBB1_288
; %bb.287:                              ;   in Loop: Header=BB1_280 Depth=1
	global_load_b64 v[2:3], v[4:5], off
	v_add_nc_u32_e32 v14, -8, v32
.LBB1_288:                              ;   in Loop: Header=BB1_280 Depth=1
	s_wait_xcnt 0x0
	s_or_b32 exec_lo, exec_lo, s0
	v_add_nc_u64_e32 v[6:7], 8, v[12:13]
                                        ; implicit-def: $vgpr10_vgpr11
	s_mov_b32 s0, exec_lo
	v_cmpx_gt_u32_e32 8, v14
	s_xor_b32 s11, exec_lo, s0
	s_cbranch_execz .LBB1_294
; %bb.289:                              ;   in Loop: Header=BB1_280 Depth=1
	v_mov_b64_e32 v[10:11], 0
	s_mov_b32 s12, exec_lo
	v_cmpx_ne_u32_e32 0, v14
	s_cbranch_execz .LBB1_293
; %bb.290:                              ;   in Loop: Header=BB1_280 Depth=1
	v_mov_b64_e32 v[10:11], 0
	s_mov_b64 s[0:1], 0
	s_mov_b32 s13, 0
	s_mov_b64 s[4:5], 0
.LBB1_291:                              ;   Parent Loop BB1_280 Depth=1
                                        ; =>  This Inner Loop Header: Depth=2
	s_delay_alu instid0(SALU_CYCLE_1) | instskip(SKIP_1) | instid1(SALU_CYCLE_1)
	v_add_nc_u64_e32 v[6:7], s[4:5], v[12:13]
	s_add_nc_u64 s[4:5], s[4:5], 1
	v_cmp_eq_u32_e32 vcc_lo, s4, v14
	global_load_u8 v6, v[6:7], off
	s_wait_xcnt 0x0
	v_mov_b32_e32 v7, s10
	s_or_b32 s13, vcc_lo, s13
	s_wait_loadcnt 0x0
	v_and_b32_e32 v6, 0xffff, v6
	s_delay_alu instid0(VALU_DEP_1) | instskip(SKIP_1) | instid1(VALU_DEP_1)
	v_lshlrev_b64_e32 v[6:7], s0, v[6:7]
	s_add_nc_u64 s[0:1], s[0:1], 8
	v_or_b32_e32 v11, v7, v11
	s_delay_alu instid0(VALU_DEP_2)
	v_or_b32_e32 v10, v6, v10
	s_and_not1_b32 exec_lo, exec_lo, s13
	s_cbranch_execnz .LBB1_291
; %bb.292:                              ;   in Loop: Header=BB1_280 Depth=1
	s_or_b32 exec_lo, exec_lo, s13
.LBB1_293:                              ;   in Loop: Header=BB1_280 Depth=1
	s_delay_alu instid0(SALU_CYCLE_1)
	s_or_b32 exec_lo, exec_lo, s12
	v_mov_b64_e32 v[6:7], v[12:13]
                                        ; implicit-def: $vgpr14
.LBB1_294:                              ;   in Loop: Header=BB1_280 Depth=1
	s_or_saveexec_b32 s0, s11
	v_mov_b32_e32 v15, 0
	s_xor_b32 exec_lo, exec_lo, s0
	s_cbranch_execz .LBB1_296
; %bb.295:                              ;   in Loop: Header=BB1_280 Depth=1
	global_load_b64 v[10:11], v[12:13], off
	v_add_nc_u32_e32 v15, -8, v14
.LBB1_296:                              ;   in Loop: Header=BB1_280 Depth=1
	s_wait_xcnt 0x0
	s_or_b32 exec_lo, exec_lo, s0
	v_add_nc_u64_e32 v[16:17], 8, v[6:7]
	s_mov_b32 s0, exec_lo
	v_cmpx_gt_u32_e32 8, v15
	s_xor_b32 s11, exec_lo, s0
	s_cbranch_execz .LBB1_302
; %bb.297:                              ;   in Loop: Header=BB1_280 Depth=1
	v_mov_b64_e32 v[12:13], 0
	s_mov_b32 s12, exec_lo
	v_cmpx_ne_u32_e32 0, v15
	s_cbranch_execz .LBB1_301
; %bb.298:                              ;   in Loop: Header=BB1_280 Depth=1
	v_mov_b64_e32 v[12:13], 0
	s_mov_b64 s[0:1], 0
	s_mov_b32 s13, 0
	s_mov_b64 s[4:5], 0
.LBB1_299:                              ;   Parent Loop BB1_280 Depth=1
                                        ; =>  This Inner Loop Header: Depth=2
	s_delay_alu instid0(SALU_CYCLE_1) | instskip(SKIP_1) | instid1(SALU_CYCLE_1)
	v_add_nc_u64_e32 v[16:17], s[4:5], v[6:7]
	s_add_nc_u64 s[4:5], s[4:5], 1
	v_cmp_eq_u32_e32 vcc_lo, s4, v15
	global_load_u8 v14, v[16:17], off
	s_wait_xcnt 0x0
	v_mov_b32_e32 v17, s10
	s_or_b32 s13, vcc_lo, s13
	s_wait_loadcnt 0x0
	v_and_b32_e32 v16, 0xffff, v14
	s_delay_alu instid0(VALU_DEP_1) | instskip(SKIP_1) | instid1(VALU_DEP_1)
	v_lshlrev_b64_e32 v[16:17], s0, v[16:17]
	s_add_nc_u64 s[0:1], s[0:1], 8
	v_or_b32_e32 v13, v17, v13
	s_delay_alu instid0(VALU_DEP_2)
	v_or_b32_e32 v12, v16, v12
	s_and_not1_b32 exec_lo, exec_lo, s13
	s_cbranch_execnz .LBB1_299
; %bb.300:                              ;   in Loop: Header=BB1_280 Depth=1
	s_or_b32 exec_lo, exec_lo, s13
.LBB1_301:                              ;   in Loop: Header=BB1_280 Depth=1
	s_delay_alu instid0(SALU_CYCLE_1)
	s_or_b32 exec_lo, exec_lo, s12
	v_mov_b64_e32 v[16:17], v[6:7]
                                        ; implicit-def: $vgpr15
.LBB1_302:                              ;   in Loop: Header=BB1_280 Depth=1
	s_or_saveexec_b32 s0, s11
	v_mov_b32_e32 v18, 0
	s_xor_b32 exec_lo, exec_lo, s0
	s_cbranch_execz .LBB1_304
; %bb.303:                              ;   in Loop: Header=BB1_280 Depth=1
	global_load_b64 v[12:13], v[6:7], off
	v_add_nc_u32_e32 v18, -8, v15
.LBB1_304:                              ;   in Loop: Header=BB1_280 Depth=1
	s_wait_xcnt 0x0
	s_or_b32 exec_lo, exec_lo, s0
	v_add_nc_u64_e32 v[6:7], 8, v[16:17]
                                        ; implicit-def: $vgpr14_vgpr15
	s_mov_b32 s0, exec_lo
	v_cmpx_gt_u32_e32 8, v18
	s_xor_b32 s11, exec_lo, s0
	s_cbranch_execz .LBB1_310
; %bb.305:                              ;   in Loop: Header=BB1_280 Depth=1
	v_mov_b64_e32 v[14:15], 0
	s_mov_b32 s12, exec_lo
	v_cmpx_ne_u32_e32 0, v18
	s_cbranch_execz .LBB1_309
; %bb.306:                              ;   in Loop: Header=BB1_280 Depth=1
	v_mov_b64_e32 v[14:15], 0
	s_mov_b64 s[0:1], 0
	s_mov_b32 s13, 0
	s_mov_b64 s[4:5], 0
.LBB1_307:                              ;   Parent Loop BB1_280 Depth=1
                                        ; =>  This Inner Loop Header: Depth=2
	s_delay_alu instid0(SALU_CYCLE_1) | instskip(SKIP_1) | instid1(SALU_CYCLE_1)
	v_add_nc_u64_e32 v[6:7], s[4:5], v[16:17]
	s_add_nc_u64 s[4:5], s[4:5], 1
	v_cmp_eq_u32_e32 vcc_lo, s4, v18
	global_load_u8 v6, v[6:7], off
	s_wait_xcnt 0x0
	v_mov_b32_e32 v7, s10
	s_or_b32 s13, vcc_lo, s13
	s_wait_loadcnt 0x0
	v_and_b32_e32 v6, 0xffff, v6
	s_delay_alu instid0(VALU_DEP_1) | instskip(SKIP_1) | instid1(VALU_DEP_1)
	v_lshlrev_b64_e32 v[6:7], s0, v[6:7]
	s_add_nc_u64 s[0:1], s[0:1], 8
	v_or_b32_e32 v15, v7, v15
	s_delay_alu instid0(VALU_DEP_2)
	v_or_b32_e32 v14, v6, v14
	s_and_not1_b32 exec_lo, exec_lo, s13
	s_cbranch_execnz .LBB1_307
; %bb.308:                              ;   in Loop: Header=BB1_280 Depth=1
	s_or_b32 exec_lo, exec_lo, s13
.LBB1_309:                              ;   in Loop: Header=BB1_280 Depth=1
	s_delay_alu instid0(SALU_CYCLE_1)
	s_or_b32 exec_lo, exec_lo, s12
	v_mov_b64_e32 v[6:7], v[16:17]
                                        ; implicit-def: $vgpr18
.LBB1_310:                              ;   in Loop: Header=BB1_280 Depth=1
	s_or_saveexec_b32 s0, s11
	v_mov_b32_e32 v19, 0
	s_xor_b32 exec_lo, exec_lo, s0
	s_cbranch_execz .LBB1_312
; %bb.311:                              ;   in Loop: Header=BB1_280 Depth=1
	global_load_b64 v[14:15], v[16:17], off
	v_add_nc_u32_e32 v19, -8, v18
.LBB1_312:                              ;   in Loop: Header=BB1_280 Depth=1
	s_wait_xcnt 0x0
	s_or_b32 exec_lo, exec_lo, s0
	v_add_nc_u64_e32 v[20:21], 8, v[6:7]
	s_mov_b32 s0, exec_lo
	v_cmpx_gt_u32_e32 8, v19
	s_xor_b32 s11, exec_lo, s0
	s_cbranch_execz .LBB1_318
; %bb.313:                              ;   in Loop: Header=BB1_280 Depth=1
	v_mov_b64_e32 v[16:17], 0
	s_mov_b32 s12, exec_lo
	v_cmpx_ne_u32_e32 0, v19
	s_cbranch_execz .LBB1_317
; %bb.314:                              ;   in Loop: Header=BB1_280 Depth=1
	v_mov_b64_e32 v[16:17], 0
	s_mov_b64 s[0:1], 0
	s_mov_b32 s13, 0
	s_mov_b64 s[4:5], 0
.LBB1_315:                              ;   Parent Loop BB1_280 Depth=1
                                        ; =>  This Inner Loop Header: Depth=2
	s_delay_alu instid0(SALU_CYCLE_1) | instskip(SKIP_1) | instid1(SALU_CYCLE_1)
	v_add_nc_u64_e32 v[20:21], s[4:5], v[6:7]
	s_add_nc_u64 s[4:5], s[4:5], 1
	v_cmp_eq_u32_e32 vcc_lo, s4, v19
	global_load_u8 v18, v[20:21], off
	s_wait_xcnt 0x0
	v_mov_b32_e32 v21, s10
	s_or_b32 s13, vcc_lo, s13
	s_wait_loadcnt 0x0
	v_and_b32_e32 v20, 0xffff, v18
	s_delay_alu instid0(VALU_DEP_1) | instskip(SKIP_1) | instid1(VALU_DEP_1)
	v_lshlrev_b64_e32 v[20:21], s0, v[20:21]
	s_add_nc_u64 s[0:1], s[0:1], 8
	v_or_b32_e32 v17, v21, v17
	s_delay_alu instid0(VALU_DEP_2)
	v_or_b32_e32 v16, v20, v16
	s_and_not1_b32 exec_lo, exec_lo, s13
	s_cbranch_execnz .LBB1_315
; %bb.316:                              ;   in Loop: Header=BB1_280 Depth=1
	s_or_b32 exec_lo, exec_lo, s13
.LBB1_317:                              ;   in Loop: Header=BB1_280 Depth=1
	s_delay_alu instid0(SALU_CYCLE_1)
	s_or_b32 exec_lo, exec_lo, s12
	v_mov_b64_e32 v[20:21], v[6:7]
                                        ; implicit-def: $vgpr19
.LBB1_318:                              ;   in Loop: Header=BB1_280 Depth=1
	s_or_saveexec_b32 s0, s11
	v_mov_b32_e32 v22, 0
	s_xor_b32 exec_lo, exec_lo, s0
	s_cbranch_execz .LBB1_320
; %bb.319:                              ;   in Loop: Header=BB1_280 Depth=1
	global_load_b64 v[16:17], v[6:7], off
	v_add_nc_u32_e32 v22, -8, v19
.LBB1_320:                              ;   in Loop: Header=BB1_280 Depth=1
	s_wait_xcnt 0x0
	s_or_b32 exec_lo, exec_lo, s0
	v_add_nc_u64_e32 v[6:7], 8, v[20:21]
                                        ; implicit-def: $vgpr18_vgpr19
	s_mov_b32 s0, exec_lo
	v_cmpx_gt_u32_e32 8, v22
	s_xor_b32 s11, exec_lo, s0
	s_cbranch_execz .LBB1_326
; %bb.321:                              ;   in Loop: Header=BB1_280 Depth=1
	v_mov_b64_e32 v[18:19], 0
	s_mov_b32 s12, exec_lo
	v_cmpx_ne_u32_e32 0, v22
	s_cbranch_execz .LBB1_325
; %bb.322:                              ;   in Loop: Header=BB1_280 Depth=1
	v_mov_b64_e32 v[18:19], 0
	s_mov_b64 s[0:1], 0
	s_mov_b32 s13, 0
	s_mov_b64 s[4:5], 0
.LBB1_323:                              ;   Parent Loop BB1_280 Depth=1
                                        ; =>  This Inner Loop Header: Depth=2
	s_delay_alu instid0(SALU_CYCLE_1) | instskip(SKIP_1) | instid1(SALU_CYCLE_1)
	v_add_nc_u64_e32 v[6:7], s[4:5], v[20:21]
	s_add_nc_u64 s[4:5], s[4:5], 1
	v_cmp_eq_u32_e32 vcc_lo, s4, v22
	global_load_u8 v6, v[6:7], off
	s_wait_xcnt 0x0
	v_mov_b32_e32 v7, s10
	s_or_b32 s13, vcc_lo, s13
	s_wait_loadcnt 0x0
	v_and_b32_e32 v6, 0xffff, v6
	s_delay_alu instid0(VALU_DEP_1) | instskip(SKIP_1) | instid1(VALU_DEP_1)
	v_lshlrev_b64_e32 v[6:7], s0, v[6:7]
	s_add_nc_u64 s[0:1], s[0:1], 8
	v_or_b32_e32 v19, v7, v19
	s_delay_alu instid0(VALU_DEP_2)
	v_or_b32_e32 v18, v6, v18
	s_and_not1_b32 exec_lo, exec_lo, s13
	s_cbranch_execnz .LBB1_323
; %bb.324:                              ;   in Loop: Header=BB1_280 Depth=1
	s_or_b32 exec_lo, exec_lo, s13
.LBB1_325:                              ;   in Loop: Header=BB1_280 Depth=1
	s_delay_alu instid0(SALU_CYCLE_1)
	s_or_b32 exec_lo, exec_lo, s12
	v_mov_b64_e32 v[6:7], v[20:21]
                                        ; implicit-def: $vgpr22
.LBB1_326:                              ;   in Loop: Header=BB1_280 Depth=1
	s_or_saveexec_b32 s0, s11
	v_mov_b32_e32 v23, 0
	s_xor_b32 exec_lo, exec_lo, s0
	s_cbranch_execz .LBB1_328
; %bb.327:                              ;   in Loop: Header=BB1_280 Depth=1
	global_load_b64 v[18:19], v[20:21], off
	v_add_nc_u32_e32 v23, -8, v22
.LBB1_328:                              ;   in Loop: Header=BB1_280 Depth=1
	s_wait_xcnt 0x0
	s_or_b32 exec_lo, exec_lo, s0
	s_delay_alu instid0(SALU_CYCLE_1) | instskip(NEXT) | instid1(VALU_DEP_1)
	s_mov_b32 s0, exec_lo
	v_cmpx_gt_u32_e32 8, v23
	s_xor_b32 s4, exec_lo, s0
	s_cbranch_execz .LBB1_334
; %bb.329:                              ;   in Loop: Header=BB1_280 Depth=1
	v_mov_b64_e32 v[20:21], 0
	s_mov_b32 s5, exec_lo
	v_cmpx_ne_u32_e32 0, v23
	s_cbranch_execz .LBB1_333
; %bb.330:                              ;   in Loop: Header=BB1_280 Depth=1
	v_mov_b64_e32 v[20:21], 0
	s_mov_b64 s[0:1], 0
	s_mov_b32 s11, 0
.LBB1_331:                              ;   Parent Loop BB1_280 Depth=1
                                        ; =>  This Inner Loop Header: Depth=2
	global_load_u8 v22, v[6:7], off
	v_dual_mov_b32 v25, s10 :: v_dual_add_nc_u32 v23, -1, v23
	s_wait_xcnt 0x0
	v_add_nc_u64_e32 v[6:7], 1, v[6:7]
	s_delay_alu instid0(VALU_DEP_2) | instskip(SKIP_3) | instid1(VALU_DEP_1)
	v_cmp_eq_u32_e32 vcc_lo, 0, v23
	s_or_b32 s11, vcc_lo, s11
	s_wait_loadcnt 0x0
	v_and_b32_e32 v24, 0xffff, v22
	v_lshlrev_b64_e32 v[24:25], s0, v[24:25]
	s_add_nc_u64 s[0:1], s[0:1], 8
	s_delay_alu instid0(VALU_DEP_1) | instskip(NEXT) | instid1(VALU_DEP_2)
	v_or_b32_e32 v21, v25, v21
	v_or_b32_e32 v20, v24, v20
	s_and_not1_b32 exec_lo, exec_lo, s11
	s_cbranch_execnz .LBB1_331
; %bb.332:                              ;   in Loop: Header=BB1_280 Depth=1
	s_or_b32 exec_lo, exec_lo, s11
.LBB1_333:                              ;   in Loop: Header=BB1_280 Depth=1
	s_delay_alu instid0(SALU_CYCLE_1)
	s_or_b32 exec_lo, exec_lo, s5
                                        ; implicit-def: $vgpr6_vgpr7
.LBB1_334:                              ;   in Loop: Header=BB1_280 Depth=1
	s_and_not1_saveexec_b32 s0, s4
	s_cbranch_execz .LBB1_336
; %bb.335:                              ;   in Loop: Header=BB1_280 Depth=1
	global_load_b64 v[20:21], v[6:7], off
.LBB1_336:                              ;   in Loop: Header=BB1_280 Depth=1
	s_wait_xcnt 0x0
	s_or_b32 exec_lo, exec_lo, s0
	v_readfirstlane_b32 s0, v48
	v_mov_b64_e32 v[6:7], 0
	s_delay_alu instid0(VALU_DEP_2)
	v_cmp_eq_u32_e64 s0, s0, v48
	s_and_saveexec_b32 s1, s0
	s_cbranch_execz .LBB1_342
; %bb.337:                              ;   in Loop: Header=BB1_280 Depth=1
	global_load_b64 v[24:25], v31, s[2:3] offset:24 scope:SCOPE_SYS
	s_wait_loadcnt 0x0
	global_inv scope:SCOPE_SYS
	s_clause 0x1
	global_load_b64 v[6:7], v31, s[2:3] offset:40
	global_load_b64 v[22:23], v31, s[2:3]
	s_mov_b32 s4, exec_lo
	s_wait_loadcnt 0x1
	v_and_b32_e32 v6, v6, v24
	v_and_b32_e32 v7, v7, v25
	s_delay_alu instid0(VALU_DEP_1) | instskip(SKIP_1) | instid1(VALU_DEP_1)
	v_mul_u64_e32 v[6:7], 24, v[6:7]
	s_wait_loadcnt 0x0
	v_add_nc_u64_e32 v[6:7], v[22:23], v[6:7]
	global_load_b64 v[22:23], v[6:7], off scope:SCOPE_SYS
	s_wait_xcnt 0x0
	s_wait_loadcnt 0x0
	global_atomic_cmpswap_b64 v[6:7], v31, v[22:25], s[2:3] offset:24 th:TH_ATOMIC_RETURN scope:SCOPE_SYS
	s_wait_loadcnt 0x0
	global_inv scope:SCOPE_SYS
	s_wait_xcnt 0x0
	v_cmpx_ne_u64_e64 v[6:7], v[24:25]
	s_cbranch_execz .LBB1_341
; %bb.338:                              ;   in Loop: Header=BB1_280 Depth=1
	s_mov_b32 s5, 0
.LBB1_339:                              ;   Parent Loop BB1_280 Depth=1
                                        ; =>  This Inner Loop Header: Depth=2
	s_sleep 1
	s_clause 0x1
	global_load_b64 v[22:23], v31, s[2:3] offset:40
	global_load_b64 v[34:35], v31, s[2:3]
	v_mov_b64_e32 v[24:25], v[6:7]
	s_wait_loadcnt 0x1
	s_delay_alu instid0(VALU_DEP_1) | instskip(NEXT) | instid1(VALU_DEP_2)
	v_and_b32_e32 v6, v22, v24
	v_and_b32_e32 v22, v23, v25
	s_wait_loadcnt 0x0
	s_delay_alu instid0(VALU_DEP_2) | instskip(NEXT) | instid1(VALU_DEP_1)
	v_mad_nc_u64_u32 v[6:7], v6, 24, v[34:35]
	v_mad_u32 v7, v22, 24, v7
	global_load_b64 v[22:23], v[6:7], off scope:SCOPE_SYS
	s_wait_xcnt 0x0
	s_wait_loadcnt 0x0
	global_atomic_cmpswap_b64 v[6:7], v31, v[22:25], s[2:3] offset:24 th:TH_ATOMIC_RETURN scope:SCOPE_SYS
	s_wait_loadcnt 0x0
	global_inv scope:SCOPE_SYS
	v_cmp_eq_u64_e32 vcc_lo, v[6:7], v[24:25]
	s_or_b32 s5, vcc_lo, s5
	s_wait_xcnt 0x0
	s_and_not1_b32 exec_lo, exec_lo, s5
	s_cbranch_execnz .LBB1_339
; %bb.340:                              ;   in Loop: Header=BB1_280 Depth=1
	s_or_b32 exec_lo, exec_lo, s5
.LBB1_341:                              ;   in Loop: Header=BB1_280 Depth=1
	s_delay_alu instid0(SALU_CYCLE_1)
	s_or_b32 exec_lo, exec_lo, s4
.LBB1_342:                              ;   in Loop: Header=BB1_280 Depth=1
	s_delay_alu instid0(SALU_CYCLE_1)
	s_or_b32 exec_lo, exec_lo, s1
	s_clause 0x1
	global_load_b64 v[34:35], v31, s[2:3] offset:40
	global_load_b128 v[22:25], v31, s[2:3]
	v_readfirstlane_b32 s4, v6
	v_readfirstlane_b32 s5, v7
	s_mov_b32 s1, exec_lo
	s_wait_loadcnt 0x1
	v_and_b32_e32 v36, s4, v34
	v_and_b32_e32 v37, s5, v35
	s_delay_alu instid0(VALU_DEP_1) | instskip(SKIP_1) | instid1(VALU_DEP_1)
	v_mul_u64_e32 v[6:7], 24, v[36:37]
	s_wait_loadcnt 0x0
	v_add_nc_u64_e32 v[34:35], v[22:23], v[6:7]
	s_wait_xcnt 0x0
	s_and_saveexec_b32 s11, s0
	s_cbranch_execz .LBB1_344
; %bb.343:                              ;   in Loop: Header=BB1_280 Depth=1
	v_dual_mov_b32 v6, s1 :: v_dual_mov_b32 v7, v31
	global_store_b128 v[34:35], v[6:9], off offset:8
.LBB1_344:                              ;   in Loop: Header=BB1_280 Depth=1
	s_wait_xcnt 0x0
	s_or_b32 exec_lo, exec_lo, s11
	v_cmp_gt_u64_e32 vcc_lo, 57, v[26:27]
	v_lshlrev_b64_e32 v[6:7], 12, v[36:37]
	v_and_b32_e32 v0, 0xffffff1f, v0
	v_lshl_add_u32 v36, v32, 2, 28
	v_cndmask_b32_e32 v29, 0, v28, vcc_lo
	s_delay_alu instid0(VALU_DEP_4) | instskip(NEXT) | instid1(VALU_DEP_2)
	v_add_nc_u64_e32 v[6:7], v[24:25], v[6:7]
	v_or_b32_e32 v0, v0, v29
	s_delay_alu instid0(VALU_DEP_2) | instskip(NEXT) | instid1(VALU_DEP_3)
	v_readfirstlane_b32 s12, v6
	v_readfirstlane_b32 s13, v7
	s_delay_alu instid0(VALU_DEP_3)
	v_and_or_b32 v0, 0x1e0, v36, v0
	s_clause 0x3
	global_store_b128 v30, v[0:3], s[12:13]
	global_store_b128 v30, v[10:13], s[12:13] offset:16
	global_store_b128 v30, v[14:17], s[12:13] offset:32
	;; [unrolled: 1-line block ×3, first 2 shown]
	s_wait_xcnt 0x0
	s_and_saveexec_b32 s1, s0
	s_cbranch_execz .LBB1_352
; %bb.345:                              ;   in Loop: Header=BB1_280 Depth=1
	s_clause 0x1
	global_load_b64 v[14:15], v31, s[2:3] offset:32 scope:SCOPE_SYS
	global_load_b64 v[0:1], v31, s[2:3] offset:40
	s_mov_b32 s11, exec_lo
	v_dual_mov_b32 v12, s4 :: v_dual_mov_b32 v13, s5
	s_wait_loadcnt 0x0
	v_and_b32_e32 v1, s5, v1
	v_and_b32_e32 v0, s4, v0
	s_delay_alu instid0(VALU_DEP_1) | instskip(NEXT) | instid1(VALU_DEP_1)
	v_mul_u64_e32 v[0:1], 24, v[0:1]
	v_add_nc_u64_e32 v[10:11], v[22:23], v[0:1]
	global_store_b64 v[10:11], v[14:15], off
	global_wb scope:SCOPE_SYS
	s_wait_storecnt 0x0
	s_wait_xcnt 0x0
	global_atomic_cmpswap_b64 v[2:3], v31, v[12:15], s[2:3] offset:32 th:TH_ATOMIC_RETURN scope:SCOPE_SYS
	s_wait_loadcnt 0x0
	v_cmpx_ne_u64_e64 v[2:3], v[14:15]
	s_cbranch_execz .LBB1_348
; %bb.346:                              ;   in Loop: Header=BB1_280 Depth=1
	s_mov_b32 s12, 0
.LBB1_347:                              ;   Parent Loop BB1_280 Depth=1
                                        ; =>  This Inner Loop Header: Depth=2
	v_dual_mov_b32 v0, s4 :: v_dual_mov_b32 v1, s5
	s_sleep 1
	global_store_b64 v[10:11], v[2:3], off
	global_wb scope:SCOPE_SYS
	s_wait_storecnt 0x0
	s_wait_xcnt 0x0
	global_atomic_cmpswap_b64 v[0:1], v31, v[0:3], s[2:3] offset:32 th:TH_ATOMIC_RETURN scope:SCOPE_SYS
	s_wait_loadcnt 0x0
	v_cmp_eq_u64_e32 vcc_lo, v[0:1], v[2:3]
	v_mov_b64_e32 v[2:3], v[0:1]
	s_or_b32 s12, vcc_lo, s12
	s_delay_alu instid0(SALU_CYCLE_1)
	s_and_not1_b32 exec_lo, exec_lo, s12
	s_cbranch_execnz .LBB1_347
.LBB1_348:                              ;   in Loop: Header=BB1_280 Depth=1
	s_or_b32 exec_lo, exec_lo, s11
	global_load_b64 v[0:1], v31, s[2:3] offset:16
	s_mov_b32 s12, exec_lo
	s_mov_b32 s11, exec_lo
	v_mbcnt_lo_u32_b32 v2, s12, 0
	s_wait_xcnt 0x0
	s_delay_alu instid0(VALU_DEP_1)
	v_cmpx_eq_u32_e32 0, v2
	s_cbranch_execz .LBB1_350
; %bb.349:                              ;   in Loop: Header=BB1_280 Depth=1
	s_bcnt1_i32_b32 s12, s12
	s_delay_alu instid0(SALU_CYCLE_1)
	v_dual_mov_b32 v3, v31 :: v_dual_mov_b32 v2, s12
	global_wb scope:SCOPE_SYS
	s_wait_loadcnt 0x0
	s_wait_storecnt 0x0
	global_atomic_add_u64 v[0:1], v[2:3], off offset:8 scope:SCOPE_SYS
.LBB1_350:                              ;   in Loop: Header=BB1_280 Depth=1
	s_wait_xcnt 0x0
	s_or_b32 exec_lo, exec_lo, s11
	s_wait_loadcnt 0x0
	global_load_b64 v[2:3], v[0:1], off offset:16
	s_wait_loadcnt 0x0
	v_cmp_eq_u64_e32 vcc_lo, 0, v[2:3]
	s_cbranch_vccnz .LBB1_352
; %bb.351:                              ;   in Loop: Header=BB1_280 Depth=1
	global_load_b32 v0, v[0:1], off offset:24
	s_wait_xcnt 0x0
	v_mov_b32_e32 v1, v31
	s_wait_loadcnt 0x0
	v_readfirstlane_b32 s11, v0
	global_wb scope:SCOPE_SYS
	s_wait_storecnt 0x0
	global_store_b64 v[2:3], v[0:1], off scope:SCOPE_SYS
	s_and_b32 m0, s11, 0xffffff
	s_sendmsg sendmsg(MSG_INTERRUPT)
.LBB1_352:                              ;   in Loop: Header=BB1_280 Depth=1
	s_wait_xcnt 0x0
	s_or_b32 exec_lo, exec_lo, s1
	v_add_nc_u64_e32 v[0:1], v[6:7], v[30:31]
	s_branch .LBB1_356
.LBB1_353:                              ;   in Loop: Header=BB1_356 Depth=2
	s_wait_xcnt 0x0
	s_or_b32 exec_lo, exec_lo, s1
	s_delay_alu instid0(VALU_DEP_1)
	v_readfirstlane_b32 s1, v2
	s_cmp_eq_u32 s1, 0
	s_cbranch_scc1 .LBB1_355
; %bb.354:                              ;   in Loop: Header=BB1_356 Depth=2
	s_sleep 1
	s_cbranch_execnz .LBB1_356
	s_branch .LBB1_358
.LBB1_355:                              ;   in Loop: Header=BB1_280 Depth=1
	s_branch .LBB1_358
.LBB1_356:                              ;   Parent Loop BB1_280 Depth=1
                                        ; =>  This Inner Loop Header: Depth=2
	v_mov_b32_e32 v2, 1
	s_and_saveexec_b32 s1, s0
	s_cbranch_execz .LBB1_353
; %bb.357:                              ;   in Loop: Header=BB1_356 Depth=2
	global_load_b32 v2, v[34:35], off offset:20 scope:SCOPE_SYS
	s_wait_loadcnt 0x0
	global_inv scope:SCOPE_SYS
	v_and_b32_e32 v2, 1, v2
	s_branch .LBB1_353
.LBB1_358:                              ;   in Loop: Header=BB1_280 Depth=1
	global_load_b64 v[0:1], v[0:1], off
	s_wait_xcnt 0x0
	s_and_saveexec_b32 s11, s0
	s_cbranch_execz .LBB1_279
; %bb.359:                              ;   in Loop: Header=BB1_280 Depth=1
	s_clause 0x2
	global_load_b64 v[2:3], v31, s[2:3] offset:40
	global_load_b64 v[14:15], v31, s[2:3] offset:24 scope:SCOPE_SYS
	global_load_b64 v[6:7], v31, s[2:3]
	s_wait_loadcnt 0x2
	v_readfirstlane_b32 s12, v2
	v_readfirstlane_b32 s13, v3
	s_add_nc_u64 s[0:1], s[12:13], 1
	s_delay_alu instid0(SALU_CYCLE_1) | instskip(NEXT) | instid1(SALU_CYCLE_1)
	s_add_nc_u64 s[4:5], s[0:1], s[4:5]
	s_cmp_eq_u64 s[4:5], 0
	s_cselect_b32 s1, s1, s5
	s_cselect_b32 s0, s0, s4
	s_delay_alu instid0(SALU_CYCLE_1) | instskip(SKIP_1) | instid1(SALU_CYCLE_1)
	v_dual_mov_b32 v13, s1 :: v_dual_mov_b32 v12, s0
	s_and_b64 s[4:5], s[0:1], s[12:13]
	s_mul_u64 s[4:5], s[4:5], 24
	s_wait_loadcnt 0x0
	v_add_nc_u64_e32 v[2:3], s[4:5], v[6:7]
	global_store_b64 v[2:3], v[14:15], off
	global_wb scope:SCOPE_SYS
	s_wait_storecnt 0x0
	s_wait_xcnt 0x0
	global_atomic_cmpswap_b64 v[12:13], v31, v[12:15], s[2:3] offset:24 th:TH_ATOMIC_RETURN scope:SCOPE_SYS
	s_wait_loadcnt 0x0
	v_cmp_ne_u64_e32 vcc_lo, v[12:13], v[14:15]
	s_and_b32 exec_lo, exec_lo, vcc_lo
	s_cbranch_execz .LBB1_279
; %bb.360:                              ;   in Loop: Header=BB1_280 Depth=1
	s_mov_b32 s4, 0
.LBB1_361:                              ;   Parent Loop BB1_280 Depth=1
                                        ; =>  This Inner Loop Header: Depth=2
	v_dual_mov_b32 v10, s0 :: v_dual_mov_b32 v11, s1
	s_sleep 1
	global_store_b64 v[2:3], v[12:13], off
	global_wb scope:SCOPE_SYS
	s_wait_storecnt 0x0
	s_wait_xcnt 0x0
	global_atomic_cmpswap_b64 v[6:7], v31, v[10:13], s[2:3] offset:24 th:TH_ATOMIC_RETURN scope:SCOPE_SYS
	s_wait_loadcnt 0x0
	v_cmp_eq_u64_e32 vcc_lo, v[6:7], v[12:13]
	v_mov_b64_e32 v[12:13], v[6:7]
	s_or_b32 s4, vcc_lo, s4
	s_delay_alu instid0(SALU_CYCLE_1)
	s_and_not1_b32 exec_lo, exec_lo, s4
	s_cbranch_execnz .LBB1_361
	s_branch .LBB1_279
.LBB1_362:
	s_or_b32 exec_lo, exec_lo, s7
                                        ; implicit-def: $vgpr30
                                        ; implicit-def: $vgpr48
.LBB1_363:
	s_and_not1_saveexec_b32 s6, s6
	s_cbranch_execz .LBB1_391
; %bb.364:
	v_readfirstlane_b32 s0, v48
	v_mov_b64_e32 v[2:3], 0
	s_delay_alu instid0(VALU_DEP_2)
	v_cmp_eq_u32_e64 s0, s0, v48
	s_and_saveexec_b32 s1, s0
	s_cbranch_execz .LBB1_370
; %bb.365:
	v_mov_b32_e32 v4, 0
	s_mov_b32 s4, exec_lo
	global_load_b64 v[8:9], v4, s[2:3] offset:24 scope:SCOPE_SYS
	s_wait_loadcnt 0x0
	global_inv scope:SCOPE_SYS
	s_clause 0x1
	global_load_b64 v[2:3], v4, s[2:3] offset:40
	global_load_b64 v[6:7], v4, s[2:3]
	s_wait_loadcnt 0x1
	v_and_b32_e32 v2, v2, v8
	v_and_b32_e32 v3, v3, v9
	s_delay_alu instid0(VALU_DEP_1) | instskip(SKIP_1) | instid1(VALU_DEP_1)
	v_mul_u64_e32 v[2:3], 24, v[2:3]
	s_wait_loadcnt 0x0
	v_add_nc_u64_e32 v[2:3], v[6:7], v[2:3]
	global_load_b64 v[6:7], v[2:3], off scope:SCOPE_SYS
	s_wait_xcnt 0x0
	s_wait_loadcnt 0x0
	global_atomic_cmpswap_b64 v[2:3], v4, v[6:9], s[2:3] offset:24 th:TH_ATOMIC_RETURN scope:SCOPE_SYS
	s_wait_loadcnt 0x0
	global_inv scope:SCOPE_SYS
	s_wait_xcnt 0x0
	v_cmpx_ne_u64_e64 v[2:3], v[8:9]
	s_cbranch_execz .LBB1_369
; %bb.366:
	s_mov_b32 s5, 0
.LBB1_367:                              ; =>This Inner Loop Header: Depth=1
	s_sleep 1
	s_clause 0x1
	global_load_b64 v[6:7], v4, s[2:3] offset:40
	global_load_b64 v[10:11], v4, s[2:3]
	v_mov_b64_e32 v[8:9], v[2:3]
	s_wait_loadcnt 0x1
	s_delay_alu instid0(VALU_DEP_1) | instskip(NEXT) | instid1(VALU_DEP_2)
	v_and_b32_e32 v2, v6, v8
	v_and_b32_e32 v5, v7, v9
	s_wait_loadcnt 0x0
	s_delay_alu instid0(VALU_DEP_2) | instskip(NEXT) | instid1(VALU_DEP_1)
	v_mad_nc_u64_u32 v[2:3], v2, 24, v[10:11]
	v_mad_u32 v3, v5, 24, v3
	global_load_b64 v[6:7], v[2:3], off scope:SCOPE_SYS
	s_wait_xcnt 0x0
	s_wait_loadcnt 0x0
	global_atomic_cmpswap_b64 v[2:3], v4, v[6:9], s[2:3] offset:24 th:TH_ATOMIC_RETURN scope:SCOPE_SYS
	s_wait_loadcnt 0x0
	global_inv scope:SCOPE_SYS
	v_cmp_eq_u64_e32 vcc_lo, v[2:3], v[8:9]
	s_or_b32 s5, vcc_lo, s5
	s_wait_xcnt 0x0
	s_and_not1_b32 exec_lo, exec_lo, s5
	s_cbranch_execnz .LBB1_367
; %bb.368:
	s_or_b32 exec_lo, exec_lo, s5
.LBB1_369:
	s_delay_alu instid0(SALU_CYCLE_1)
	s_or_b32 exec_lo, exec_lo, s4
.LBB1_370:
	s_delay_alu instid0(SALU_CYCLE_1)
	s_or_b32 exec_lo, exec_lo, s1
	v_readfirstlane_b32 s4, v2
	v_mov_b32_e32 v31, 0
	v_readfirstlane_b32 s5, v3
	s_mov_b32 s1, exec_lo
	s_clause 0x1
	global_load_b64 v[8:9], v31, s[2:3] offset:40
	global_load_b128 v[4:7], v31, s[2:3]
	s_wait_loadcnt 0x1
	v_and_b32_e32 v2, s4, v8
	v_and_b32_e32 v3, s5, v9
	s_delay_alu instid0(VALU_DEP_1) | instskip(SKIP_1) | instid1(VALU_DEP_1)
	v_mul_u64_e32 v[8:9], 24, v[2:3]
	s_wait_loadcnt 0x0
	v_add_nc_u64_e32 v[8:9], v[4:5], v[8:9]
	s_wait_xcnt 0x0
	s_and_saveexec_b32 s7, s0
	s_cbranch_execz .LBB1_372
; %bb.371:
	v_mov_b64_e32 v[12:13], 0x100000002
	v_dual_mov_b32 v10, s1 :: v_dual_mov_b32 v11, v31
	global_store_b128 v[8:9], v[10:13], off offset:8
.LBB1_372:
	s_wait_xcnt 0x0
	s_or_b32 exec_lo, exec_lo, s7
	v_lshlrev_b64_e32 v[2:3], 12, v[2:3]
	s_mov_b32 s12, 0
	v_and_or_b32 v0, 0xffffff1f, v0, 32
	s_mov_b32 s13, s12
	s_mov_b32 s14, s12
	;; [unrolled: 1-line block ×3, first 2 shown]
	v_mov_b64_e32 v[10:11], s[12:13]
	v_add_nc_u64_e32 v[6:7], v[6:7], v[2:3]
	v_mov_b64_e32 v[12:13], s[14:15]
	v_dual_mov_b32 v2, v31 :: v_dual_mov_b32 v3, v31
	s_delay_alu instid0(VALU_DEP_3) | instskip(NEXT) | instid1(VALU_DEP_4)
	v_readfirstlane_b32 s10, v6
	v_readfirstlane_b32 s11, v7
	s_clause 0x3
	global_store_b128 v30, v[0:3], s[10:11]
	global_store_b128 v30, v[10:13], s[10:11] offset:16
	global_store_b128 v30, v[10:13], s[10:11] offset:32
	global_store_b128 v30, v[10:13], s[10:11] offset:48
	s_wait_xcnt 0x0
	s_and_saveexec_b32 s1, s0
	s_cbranch_execz .LBB1_380
; %bb.373:
	v_dual_mov_b32 v10, 0 :: v_dual_mov_b32 v13, s5
	s_mov_b32 s7, exec_lo
	s_clause 0x1
	global_load_b64 v[14:15], v10, s[2:3] offset:32 scope:SCOPE_SYS
	global_load_b64 v[0:1], v10, s[2:3] offset:40
	s_wait_loadcnt 0x0
	v_dual_mov_b32 v12, s4 :: v_dual_bitop2_b32 v1, s5, v1 bitop3:0x40
	v_and_b32_e32 v0, s4, v0
	s_delay_alu instid0(VALU_DEP_1) | instskip(NEXT) | instid1(VALU_DEP_1)
	v_mul_u64_e32 v[0:1], 24, v[0:1]
	v_add_nc_u64_e32 v[4:5], v[4:5], v[0:1]
	global_store_b64 v[4:5], v[14:15], off
	global_wb scope:SCOPE_SYS
	s_wait_storecnt 0x0
	s_wait_xcnt 0x0
	global_atomic_cmpswap_b64 v[2:3], v10, v[12:15], s[2:3] offset:32 th:TH_ATOMIC_RETURN scope:SCOPE_SYS
	s_wait_loadcnt 0x0
	v_cmpx_ne_u64_e64 v[2:3], v[14:15]
	s_cbranch_execz .LBB1_376
; %bb.374:
	s_mov_b32 s10, 0
.LBB1_375:                              ; =>This Inner Loop Header: Depth=1
	v_dual_mov_b32 v0, s4 :: v_dual_mov_b32 v1, s5
	s_sleep 1
	global_store_b64 v[4:5], v[2:3], off
	global_wb scope:SCOPE_SYS
	s_wait_storecnt 0x0
	s_wait_xcnt 0x0
	global_atomic_cmpswap_b64 v[0:1], v10, v[0:3], s[2:3] offset:32 th:TH_ATOMIC_RETURN scope:SCOPE_SYS
	s_wait_loadcnt 0x0
	v_cmp_eq_u64_e32 vcc_lo, v[0:1], v[2:3]
	v_mov_b64_e32 v[2:3], v[0:1]
	s_or_b32 s10, vcc_lo, s10
	s_delay_alu instid0(SALU_CYCLE_1)
	s_and_not1_b32 exec_lo, exec_lo, s10
	s_cbranch_execnz .LBB1_375
.LBB1_376:
	s_or_b32 exec_lo, exec_lo, s7
	v_mov_b32_e32 v3, 0
	s_mov_b32 s10, exec_lo
	s_mov_b32 s7, exec_lo
	v_mbcnt_lo_u32_b32 v2, s10, 0
	global_load_b64 v[0:1], v3, s[2:3] offset:16
	s_wait_xcnt 0x0
	v_cmpx_eq_u32_e32 0, v2
	s_cbranch_execz .LBB1_378
; %bb.377:
	s_bcnt1_i32_b32 s10, s10
	s_delay_alu instid0(SALU_CYCLE_1)
	v_mov_b32_e32 v2, s10
	global_wb scope:SCOPE_SYS
	s_wait_loadcnt 0x0
	s_wait_storecnt 0x0
	global_atomic_add_u64 v[0:1], v[2:3], off offset:8 scope:SCOPE_SYS
.LBB1_378:
	s_wait_xcnt 0x0
	s_or_b32 exec_lo, exec_lo, s7
	s_wait_loadcnt 0x0
	global_load_b64 v[2:3], v[0:1], off offset:16
	s_wait_loadcnt 0x0
	v_cmp_eq_u64_e32 vcc_lo, 0, v[2:3]
	s_cbranch_vccnz .LBB1_380
; %bb.379:
	global_load_b32 v0, v[0:1], off offset:24
	s_wait_xcnt 0x0
	v_mov_b32_e32 v1, 0
	s_wait_loadcnt 0x0
	v_readfirstlane_b32 s7, v0
	global_wb scope:SCOPE_SYS
	s_wait_storecnt 0x0
	global_store_b64 v[2:3], v[0:1], off scope:SCOPE_SYS
	s_and_b32 m0, s7, 0xffffff
	s_sendmsg sendmsg(MSG_INTERRUPT)
.LBB1_380:
	s_wait_xcnt 0x0
	s_or_b32 exec_lo, exec_lo, s1
	v_add_nc_u64_e32 v[0:1], v[6:7], v[30:31]
	s_branch .LBB1_384
.LBB1_381:                              ;   in Loop: Header=BB1_384 Depth=1
	s_wait_xcnt 0x0
	s_or_b32 exec_lo, exec_lo, s1
	s_delay_alu instid0(VALU_DEP_1)
	v_readfirstlane_b32 s1, v2
	s_cmp_eq_u32 s1, 0
	s_cbranch_scc1 .LBB1_383
; %bb.382:                              ;   in Loop: Header=BB1_384 Depth=1
	s_sleep 1
	s_cbranch_execnz .LBB1_384
	s_branch .LBB1_386
.LBB1_383:
	s_branch .LBB1_386
.LBB1_384:                              ; =>This Inner Loop Header: Depth=1
	v_mov_b32_e32 v2, 1
	s_and_saveexec_b32 s1, s0
	s_cbranch_execz .LBB1_381
; %bb.385:                              ;   in Loop: Header=BB1_384 Depth=1
	global_load_b32 v2, v[8:9], off offset:20 scope:SCOPE_SYS
	s_wait_loadcnt 0x0
	global_inv scope:SCOPE_SYS
	v_and_b32_e32 v2, 1, v2
	s_branch .LBB1_381
.LBB1_386:
	global_load_b64 v[0:1], v[0:1], off
	s_wait_xcnt 0x0
	s_and_saveexec_b32 s7, s0
	s_cbranch_execz .LBB1_390
; %bb.387:
	v_mov_b32_e32 v8, 0
	s_clause 0x2
	global_load_b64 v[2:3], v8, s[2:3] offset:40
	global_load_b64 v[12:13], v8, s[2:3] offset:24 scope:SCOPE_SYS
	global_load_b64 v[4:5], v8, s[2:3]
	s_wait_loadcnt 0x2
	v_readfirstlane_b32 s10, v2
	v_readfirstlane_b32 s11, v3
	s_add_nc_u64 s[0:1], s[10:11], 1
	s_delay_alu instid0(SALU_CYCLE_1) | instskip(NEXT) | instid1(SALU_CYCLE_1)
	s_add_nc_u64 s[4:5], s[0:1], s[4:5]
	s_cmp_eq_u64 s[4:5], 0
	s_cselect_b32 s1, s1, s5
	s_cselect_b32 s0, s0, s4
	v_mov_b32_e32 v11, s1
	s_and_b64 s[4:5], s[0:1], s[10:11]
	v_mov_b32_e32 v10, s0
	s_mul_u64 s[4:5], s[4:5], 24
	s_wait_loadcnt 0x0
	v_add_nc_u64_e32 v[6:7], s[4:5], v[4:5]
	global_store_b64 v[6:7], v[12:13], off
	global_wb scope:SCOPE_SYS
	s_wait_storecnt 0x0
	s_wait_xcnt 0x0
	global_atomic_cmpswap_b64 v[4:5], v8, v[10:13], s[2:3] offset:24 th:TH_ATOMIC_RETURN scope:SCOPE_SYS
	s_wait_loadcnt 0x0
	v_cmp_ne_u64_e32 vcc_lo, v[4:5], v[12:13]
	s_and_b32 exec_lo, exec_lo, vcc_lo
	s_cbranch_execz .LBB1_390
; %bb.388:
	s_mov_b32 s4, 0
.LBB1_389:                              ; =>This Inner Loop Header: Depth=1
	v_dual_mov_b32 v2, s0 :: v_dual_mov_b32 v3, s1
	s_sleep 1
	global_store_b64 v[6:7], v[4:5], off
	global_wb scope:SCOPE_SYS
	s_wait_storecnt 0x0
	s_wait_xcnt 0x0
	global_atomic_cmpswap_b64 v[2:3], v8, v[2:5], s[2:3] offset:24 th:TH_ATOMIC_RETURN scope:SCOPE_SYS
	s_wait_loadcnt 0x0
	v_cmp_eq_u64_e32 vcc_lo, v[2:3], v[4:5]
	v_mov_b64_e32 v[4:5], v[2:3]
	s_or_b32 s4, vcc_lo, s4
	s_delay_alu instid0(SALU_CYCLE_1)
	s_and_not1_b32 exec_lo, exec_lo, s4
	s_cbranch_execnz .LBB1_389
.LBB1_390:
	s_or_b32 exec_lo, exec_lo, s7
.LBB1_391:
	s_delay_alu instid0(SALU_CYCLE_1)
	s_or_b32 exec_lo, exec_lo, s6
	s_get_pc_i64 s[0:1]
	s_add_nc_u64 s[0:1], s[0:1], .str.3@rel64+4
	s_get_pc_i64 s[2:3]
	s_add_nc_u64 s[2:3], s[2:3], .str.3@rel64+32
	v_dual_mov_b32 v2, s0 :: v_dual_mov_b32 v3, s1
	s_sub_co_i32 s4, s2, s0
	v_mov_b32_e32 v6, 1
	s_ashr_i32 s5, s4, 31
	s_delay_alu instid0(SALU_CYCLE_1) | instskip(SKIP_2) | instid1(SALU_CYCLE_1)
	v_dual_mov_b32 v4, s4 :: v_dual_mov_b32 v5, s5
	s_get_pc_i64 s[2:3]
	s_add_nc_u64 s[2:3], s[2:3], __ockl_fprintf_append_string_n@rel64+4
	s_swap_pc_i64 s[30:31], s[2:3]
	s_trap 2
.Lfunc_end1:
	.size	__assert_fail, .Lfunc_end1-__assert_fail
                                        ; -- End function
	.set .L__assert_fail.num_vgpr, max(49, .L__ockl_fprintf_append_string_n.num_vgpr)
	.set .L__assert_fail.num_agpr, max(0, .L__ockl_fprintf_append_string_n.num_agpr)
	.set .L__assert_fail.numbered_sgpr, max(34, .L__ockl_fprintf_append_string_n.numbered_sgpr)
	.set .L__assert_fail.num_named_barrier, max(0, .L__ockl_fprintf_append_string_n.num_named_barrier)
	.set .L__assert_fail.private_seg_size, 64+max(.L__ockl_fprintf_append_string_n.private_seg_size)
	.set .L__assert_fail.uses_vcc, or(1, .L__ockl_fprintf_append_string_n.uses_vcc)
	.set .L__assert_fail.uses_flat_scratch, or(1, .L__ockl_fprintf_append_string_n.uses_flat_scratch)
	.set .L__assert_fail.has_dyn_sized_stack, or(0, .L__ockl_fprintf_append_string_n.has_dyn_sized_stack)
	.set .L__assert_fail.has_recursion, or(0, .L__ockl_fprintf_append_string_n.has_recursion)
	.set .L__assert_fail.has_indirect_call, or(0, .L__ockl_fprintf_append_string_n.has_indirect_call)
	.section	.AMDGPU.csdata,"",@progbits
; Function info:
; codeLenInByte = 15740
; TotalNumSgprs: 36
; NumVgprs: 49
; ScratchSize: 64
; MemoryBound: 0
	.text
	.p2align	2                               ; -- Begin function _ZN12_GLOBAL__N_17runRingIm8FuncProdImE11ProtoSimpleILi1ELi1ELi0ELi1ELi0ELi0EELi0ELi1ELi0EEEviiP15ncclDevWorkColl
	.type	_ZN12_GLOBAL__N_17runRingIm8FuncProdImE11ProtoSimpleILi1ELi1ELi0ELi1ELi0ELi0EELi0ELi1ELi0EEEviiP15ncclDevWorkColl,@function
_ZN12_GLOBAL__N_17runRingIm8FuncProdImE11ProtoSimpleILi1ELi1ELi0ELi1ELi0ELi0EELi0ELi1ELi0EEEviiP15ncclDevWorkColl: ; @_ZN12_GLOBAL__N_17runRingIm8FuncProdImE11ProtoSimpleILi1ELi1ELi0ELi1ELi0ELi0EELi0ELi1ELi0EEEviiP15ncclDevWorkColl
; %bb.0:
	s_wait_loadcnt_dscnt 0x0
	s_wait_kmcnt 0x0
	s_mov_b32 s43, s33
	s_mov_b32 s33, s32
	s_or_saveexec_b32 s0, -1
	scratch_store_b32 off, v41, s33 offset:4 ; 4-byte Folded Spill
	s_wait_xcnt 0x0
	s_mov_b32 exec_lo, s0
	s_add_co_i32 s32, s32, 16
	scratch_store_b32 off, v40, s33         ; 4-byte Folded Spill
	v_writelane_b32 v41, s30, 0
	v_writelane_b32 v41, s31, 1
	s_trap 2
	ds_load_b64 v[28:29], v0
	ds_load_b32 v9, v0
	flat_load_b64 v[6:7], v[2:3]
                                        ; implicit-def: $vgpr34_vgpr35
                                        ; implicit-def: $vgpr4_vgpr5
                                        ; implicit-def: $vgpr14_vgpr15
	s_wait_dscnt 0x2
	v_readfirstlane_b32 s0, v28
	v_readfirstlane_b32 s1, v29
	flat_load_u16 v33, v[2:3] offset:8
	flat_load_b32 v21, v29, s[0:1] offset:-4 scale_offset
	s_wait_xcnt 0x0
	s_mov_b32 s0, exec_lo
	s_wait_loadcnt_dscnt 0x202
	v_and_b32_e32 v8, 0xff, v6
	v_mov_b32_e32 v32, v7
	s_delay_alu instid0(VALU_DEP_2)
	v_cmpx_ne_u32_e64 v9, v8
	s_xor_b32 s0, exec_lo, s0
	s_cbranch_execz .LBB2_6
; %bb.1:
	v_bfe_u32 v10, v6, 8, 8
	v_not_b32_e32 v8, v8
	s_mov_b32 s1, exec_lo
                                        ; implicit-def: $vgpr34_vgpr35
                                        ; implicit-def: $vgpr4_vgpr5
                                        ; implicit-def: $vgpr14_vgpr15
	s_delay_alu instid0(VALU_DEP_2)
	v_cmpx_ne_u32_e64 v9, v10
	s_xor_b32 s1, exec_lo, s1
	s_cbranch_execz .LBB2_3
; %bb.2:
	s_clause 0x1
	flat_load_b128 v[4:7], v[2:3] offset:72
	flat_load_b64 v[10:11], v[2:3] offset:96
	v_add_nc_u32_e32 v8, v9, v8
	s_wait_loadcnt_dscnt 0x101
	s_delay_alu instid0(VALU_DEP_1) | instskip(SKIP_3) | instid1(VALU_DEP_3)
	v_mad_nc_u64_u32 v[14:15], v6, v8, v[4:5]
	v_ashrrev_i32_e32 v5, 31, v8
	s_wait_loadcnt_dscnt 0x0
	v_lshrrev_b64 v[34:35], 15, v[10:11]
                                        ; implicit-def: $vgpr10
	v_mad_u32 v4, v7, v8, v15
                                        ; implicit-def: $vgpr8
	s_delay_alu instid0(VALU_DEP_1)
	v_mad_u32 v15, v6, v5, v4
	v_mov_b64_e32 v[4:5], v[6:7]
.LBB2_3:
	s_wait_xcnt 0x0
	s_and_not1_saveexec_b32 s1, s1
	s_cbranch_execz .LBB2_5
; %bb.4:
	s_clause 0x1
	flat_load_b128 v[14:17], v[2:3] offset:72
	flat_load_b128 v[4:7], v[2:3] offset:88
	s_wait_loadcnt_dscnt 0x0
	v_dual_add_nc_u32 v6, v10, v8 :: v_dual_lshrrev_b32 v34, 4, v7
	s_delay_alu instid0(VALU_DEP_1) | instskip(NEXT) | instid1(VALU_DEP_1)
	v_mad_nc_u64_u32 v[14:15], v16, v6, v[14:15]
	v_mad_u32 v8, v17, v6, v15
	v_ashrrev_i32_e32 v6, 31, v6
	s_delay_alu instid0(VALU_DEP_1)
	v_mad_u32 v15, v16, v6, v8
.LBB2_5:
	s_wait_xcnt 0x0
	s_or_b32 exec_lo, exec_lo, s1
.LBB2_6:
	s_and_not1_saveexec_b32 s0, s0
	s_cbranch_execz .LBB2_8
; %bb.7:
	s_clause 0x1
	flat_load_b64 v[6:7], v[2:3] offset:96
	flat_load_b64 v[4:5], v[2:3] offset:72
	v_mov_b64_e32 v[14:15], 0
	s_wait_loadcnt_dscnt 0x101
	v_lshlrev_b64_e32 v[34:35], 6, v[6:7]
.LBB2_8:
	s_wait_xcnt 0x0
	s_or_b32 exec_lo, exec_lo, s0
	s_trap 2
	ds_load_b64 v[6:7], v0
	s_mov_b32 s1, 0
	s_mov_b32 s2, exec_lo
	s_wait_dscnt 0x0
	v_cmp_ne_u32_e32 vcc_lo, -1, v6
	v_cndmask_b32_e64 v49, 0, 1, vcc_lo
	v_cmp_ne_u32_e32 vcc_lo, -1, v7
	s_delay_alu instid0(VALU_DEP_2) | instskip(NEXT) | instid1(VALU_DEP_1)
	v_add_co_ci_u32_e64 v6, null, 0, v49, vcc_lo
	v_lshlrev_b32_e32 v7, 1, v6
	s_delay_alu instid0(VALU_DEP_1)
	v_cmpx_le_u32_e64 v7, v1
	s_xor_b32 s11, exec_lo, s2
	s_cbranch_execz .LBB2_607
; %bb.9:
	s_clause 0x1
	flat_load_b128 v[10:13], v[2:3] offset:16
	flat_load_b64 v[36:37], v[2:3] offset:104
	s_trap 2
	s_load_b32 s0, s[8:9], 0x0
	s_bfe_u32 s2, ttmp6, 0x4000c
	s_and_b32 s3, ttmp6, 15
	s_add_co_i32 s2, s2, 1
	s_getreg_b32 s4, hwreg(HW_REG_IB_STS2, 6, 4)
	s_mul_i32 s2, ttmp9, s2
	v_dual_mov_b32 v2, 0 :: v_dual_mov_b32 v30, 4
	s_add_co_i32 s3, s3, s2
	s_cmp_eq_u32 s4, 0
	s_cselect_b32 s2, ttmp9, s3
	s_wait_kmcnt 0x0
	s_cmp_lt_u32 s2, s0
	s_mov_b32 s2, exec_lo
	s_cselect_b32 s0, 12, 18
	s_delay_alu instid0(SALU_CYCLE_1)
	s_add_nc_u64 s[0:1], s[8:9], s[0:1]
	global_load_u16 v29, v2, s[0:1]
	s_wait_xcnt 0x0
	ds_load_b32 v2, v0
	s_wait_dscnt 0x0
	v_readfirstlane_b32 s1, v2
	v_cmpx_ge_i32_e64 v0, v49
	s_cbranch_execz .LBB2_19
; %bb.10:
	v_cmp_ge_u32_e64 s0, v0, v6
                                        ; implicit-def: $vgpr30
	s_and_saveexec_b32 s3, s0
	s_delay_alu instid0(SALU_CYCLE_1)
	s_xor_b32 s0, exec_lo, s3
	s_cbranch_execz .LBB2_16
; %bb.11:
	v_cndmask_b32_e64 v2, 0, 1, vcc_lo
	s_mov_b32 s3, exec_lo
	s_delay_alu instid0(VALU_DEP_1) | instskip(NEXT) | instid1(VALU_DEP_1)
	v_sub_nc_u32_e32 v2, v1, v2
	v_cmpx_ge_u32_e64 v0, v2
	s_xor_b32 s3, exec_lo, s3
; %bb.12:
                                        ; implicit-def: $vgpr6
; %bb.13:
	s_delay_alu instid0(SALU_CYCLE_1)
	s_or_saveexec_b32 s3, s3
	v_mov_b32_e32 v30, 16
	s_xor_b32 exec_lo, exec_lo, s3
; %bb.14:
	v_sub_nc_u32_e32 v2, v1, v6
	s_delay_alu instid0(VALU_DEP_1)
	v_cmp_lt_i32_e32 vcc_lo, v0, v2
	v_cndmask_b32_e64 v30, 32, 0, vcc_lo
; %bb.15:
	s_or_b32 exec_lo, exec_lo, s3
.LBB2_16:
	s_and_not1_saveexec_b32 s0, s0
; %bb.17:
	v_mov_b32_e32 v30, 8
; %bb.18:
	s_or_b32 exec_lo, exec_lo, s0
.LBB2_19:
	s_delay_alu instid0(SALU_CYCLE_1) | instskip(NEXT) | instid1(VALU_DEP_1)
	s_or_b32 exec_lo, exec_lo, s2
	v_dual_mov_b32 v35, -1 :: v_dual_bitop2_b32 v2, 36, v30 bitop3:0x40
	s_delay_alu instid0(VALU_DEP_1)
	v_cmp_ne_u32_e32 vcc_lo, 0, v2
	s_and_saveexec_b32 s0, vcc_lo
	s_cbranch_execz .LBB2_21
; %bb.20:
	s_trap 2
	ds_load_b32 v35, v0
.LBB2_21:
	s_or_b32 exec_lo, exec_lo, s0
	v_and_b32_e32 v2, 24, v30
	s_mov_b32 s2, exec_lo
	s_delay_alu instid0(VALU_DEP_1)
	v_cmpx_ne_u32_e32 0, v2
	s_cbranch_execz .LBB2_23
; %bb.22:
	s_trap 2
	s_wait_dscnt 0x0
	ds_load_b32 v35, v0
.LBB2_23:
	s_or_b32 exec_lo, exec_lo, s2
	s_wait_loadcnt 0x4
	v_lshrrev_b64 v[2:3], 31, v[32:33]
	v_mov_b64_e32 v[16:17], 0
	v_mov_b64_e32 v[6:7], 0
                                        ; implicit-def: $vgpr20
                                        ; implicit-def: $vgpr24_vgpr25
                                        ; implicit-def: $vgpr22_vgpr23
                                        ; implicit-def: $vgpr18_vgpr19
	s_delay_alu instid0(VALU_DEP_3) | instskip(NEXT) | instid1(VALU_DEP_1)
	v_and_b32_e32 v2, 3, v2
	v_and_b32_e32 v33, 0xffff, v2
                                        ; implicit-def: $vgpr2_vgpr3
	s_and_saveexec_b32 s0, vcc_lo
	s_cbranch_execz .LBB2_33
; %bb.24:
	s_trap 2
	ds_load_b64 v[2:3], v0
	s_wait_dscnt 0x0
	v_readfirstlane_b32 s2, v2
	v_readfirstlane_b32 s3, v3
	flat_load_b64 v[2:3], v35, s[2:3] scale_offset
	s_wait_loadcnt_dscnt 0x0
	v_mad_nc_u64_u32 v[26:27], 0xa8, v33, v[2:3]
	flat_load_b32 v2, v[26:27] offset:640
	s_wait_loadcnt_dscnt 0x0
	v_cmp_eq_u32_e32 vcc_lo, 1, v2
                                        ; implicit-def: $vgpr2_vgpr3
	s_wait_xcnt 0x0
	s_and_saveexec_b32 s2, vcc_lo
	s_cbranch_execz .LBB2_26
; %bb.25:
	flat_load_b64 v[2:3], v[26:27] offset:648
	v_or_b32_e32 v30, 0x2000, v30
	s_wait_loadcnt_dscnt 0x0
	flat_load_b64 v[6:7], v[2:3]
	s_trap 2
	s_wait_loadcnt_dscnt 0x0
	ds_store_b64 v0, v[6:7]
	flat_load_b64 v[6:7], v[2:3] offset:8
	s_wait_loadcnt_dscnt 0x0
	ds_store_b64 v0, v[6:7]
	flat_load_b64 v[6:7], v[2:3] offset:16
	s_wait_loadcnt_dscnt 0x0
	ds_store_b64 v0, v[6:7]
.LBB2_26:
	s_wait_xcnt 0x0
	s_or_b32 exec_lo, exec_lo, s2
	flat_load_b64 v[8:9], v[26:27] offset:608
	v_and_b32_e32 v6, 32, v30
	s_mov_b32 s2, exec_lo
                                        ; implicit-def: $vgpr18_vgpr19
	s_wait_xcnt 0x0
	s_delay_alu instid0(VALU_DEP_1)
	v_cmpx_ne_u32_e32 0, v6
	s_cbranch_execz .LBB2_28
; %bb.27:
	flat_load_b64 v[18:19], v[26:27] offset:560
	global_wb scope:SCOPE_SYS
	s_wait_storecnt 0x0
	s_wait_xcnt 0x0
	s_wait_loadcnt_dscnt 0x0
	flat_store_b64 v[18:19], v[8:9] scope:SCOPE_SYS
.LBB2_28:
	s_wait_xcnt 0x0
	s_or_b32 exec_lo, exec_lo, s2
	v_and_b32_e32 v20, 4, v30
	v_add_nc_u64_e32 v[16:17], 0x1f8, v[26:27]
	v_mov_b64_e32 v[6:7], 0
                                        ; implicit-def: $vgpr24_vgpr25
                                        ; implicit-def: $vgpr22_vgpr23
	s_delay_alu instid0(VALU_DEP_3)
	v_cmp_ne_u32_e32 vcc_lo, 0, v20
                                        ; implicit-def: $vgpr20
	s_and_saveexec_b32 s2, vcc_lo
	s_cbranch_execz .LBB2_32
; %bb.29:
	v_and_b32_e32 v6, 0x800, v30
	s_mov_b32 s3, exec_lo
	s_delay_alu instid0(VALU_DEP_1)
	v_cmpx_eq_u32_e32 0, v6
	s_cbranch_execz .LBB2_31
; %bb.30:
	s_trap 2
	ds_store_b64 v0, v[16:17]
.LBB2_31:
	s_or_b32 exec_lo, exec_lo, s3
	flat_load_b64 v[18:19], v[26:27] offset:552
	s_wait_loadcnt_dscnt 0x0
	flat_load_b64 v[24:25], v[18:19] scope:SCOPE_SYS
	s_clause 0x2
	flat_load_b32 v20, v[26:27] offset:576
	flat_load_b64 v[6:7], v[26:27] offset:600
	flat_load_b64 v[22:23], v[26:27] offset:520
	s_wait_xcnt 0x0
	v_or_b32_e32 v26, 0x100, v30
	s_wait_loadcnt_dscnt 0x101
	v_cmp_eq_u64_e32 vcc_lo, 0, v[6:7]
	s_delay_alu instid0(VALU_DEP_2)
	v_dual_ashrrev_i32 v20, 3, v20 :: v_dual_cndmask_b32 v30, v26, v30, vcc_lo
.LBB2_32:
	s_or_b32 exec_lo, exec_lo, s2
.LBB2_33:
	s_delay_alu instid0(SALU_CYCLE_1) | instskip(NEXT) | instid1(VALU_DEP_1)
	s_or_b32 exec_lo, exec_lo, s0
	v_and_b32_e32 v26, 24, v30
	s_delay_alu instid0(VALU_DEP_1)
	v_cmp_ne_u32_e32 vcc_lo, 0, v26
                                        ; implicit-def: $vgpr26_vgpr27
	s_and_saveexec_b32 s0, vcc_lo
	s_cbranch_execz .LBB2_41
; %bb.34:
	s_trap 2
	ds_load_b64 v[6:7], v0
	v_or_b32_e32 v26, 0x100, v30
	s_wait_dscnt 0x0
	v_readfirstlane_b32 s2, v6
	v_readfirstlane_b32 s3, v7
	flat_load_b64 v[6:7], v35, s[2:3] scale_offset
	s_wait_loadcnt_dscnt 0x0
	v_mad_nc_u64_u32 v[16:17], 0xa8, v33, v[6:7]
	flat_load_b128 v[6:9], v[16:17] offset:96
	s_wait_loadcnt_dscnt 0x0
	v_cmp_eq_u64_e32 vcc_lo, 0, v[6:7]
	v_cndmask_b32_e32 v30, v26, v30, vcc_lo
	s_delay_alu instid0(VALU_DEP_1) | instskip(NEXT) | instid1(VALU_DEP_1)
	v_and_b32_e32 v26, 16, v30
	v_cmp_ne_u32_e32 vcc_lo, 0, v26
                                        ; implicit-def: $vgpr26_vgpr27
	s_wait_xcnt 0x0
	s_and_saveexec_b32 s2, vcc_lo
	s_cbranch_execz .LBB2_36
; %bb.35:
	s_clause 0x2
	flat_load_b64 v[18:19], v[16:17] offset:48
	flat_load_b64 v[26:27], v[16:17] offset:120
	;; [unrolled: 1-line block ×3, first 2 shown]
.LBB2_36:
	s_wait_xcnt 0x0
	s_or_b32 exec_lo, exec_lo, s2
	v_and_b32_e32 v33, 8, v30
	s_mov_b32 s2, exec_lo
	s_delay_alu instid0(VALU_DEP_1)
	v_cmpx_ne_u32_e32 0, v33
	s_cbranch_execz .LBB2_40
; %bb.37:
	s_wait_loadcnt_dscnt 0x202
	v_and_b32_e32 v18, 0x800, v30
	s_mov_b32 s3, exec_lo
	s_delay_alu instid0(VALU_DEP_1)
	v_cmpx_eq_u32_e32 0, v18
	s_cbranch_execz .LBB2_39
; %bb.38:
	s_trap 2
	ds_store_b64 v0, v[16:17]
.LBB2_39:
	s_or_b32 exec_lo, exec_lo, s3
	flat_load_b64 v[18:19], v[16:17] offset:56
	s_wait_loadcnt_dscnt 0x0
	flat_load_b64 v[24:25], v[18:19] scope:SCOPE_SYS
	s_clause 0x1
	flat_load_b32 v20, v[16:17] offset:72
	flat_load_b64 v[22:23], v[16:17] offset:16
	s_wait_loadcnt_dscnt 0x101
	v_ashrrev_i32_e32 v20, 3, v20
.LBB2_40:
	s_wait_xcnt 0x0
	s_or_b32 exec_lo, exec_lo, s2
.LBB2_41:
	s_delay_alu instid0(SALU_CYCLE_1)
	s_or_b32 exec_lo, exec_lo, s0
	v_cmp_eq_u32_e64 s0, 0, v0
	s_and_saveexec_b32 s2, s0
	s_cbranch_execz .LBB2_43
; %bb.42:
	v_mov_b64_e32 v[38:39], 0
	s_wait_loadcnt 0x2
	ds_store_2addr_b64 v0, v[12:13], v[10:11] offset1:1
	s_trap 2
	ds_store_b64 v0, v[38:39]
	s_wait_loadcnt 0x1
	ds_store_b64 v0, v[36:37]
.LBB2_43:
	s_or_b32 exec_lo, exec_lo, s2
	s_ashr_i32 s2, s1, 31
	s_wait_loadcnt 0x2
	v_and_b32_e32 v12, 0x7ffffc0, v34
	s_lshr_b32 s2, s2, 29
	v_bfe_u32 v32, v32, 1, 30
	v_mov_b32_e32 v13, 0
	s_wait_loadcnt 0x0
	v_and_b32_e32 v82, 0xffff, v29
	s_add_co_i32 s1, s1, s2
                                        ; implicit-def: $vgpr10_vgpr11
	s_delay_alu instid0(SALU_CYCLE_1)
	s_ashr_i32 s12, s1, 6
	s_mov_b32 s1, exec_lo
	v_cmpx_ne_u32_e64 v21, v32
	s_xor_b32 s13, exec_lo, s1
	s_cbranch_execz .LBB2_397
; %bb.44:
                                        ; implicit-def: $vgpr10_vgpr11
	s_mov_b32 s1, exec_lo
	v_cmpx_ne_u32_e64 v28, v32
	s_xor_b32 s14, exec_lo, s1
	s_cbranch_execz .LBB2_226
; %bb.45:
	v_mov_b64_e32 v[10:11], 0
	s_mov_b32 s15, exec_lo
	v_cmpx_ne_u64_e32 0, v[4:5]
	s_cbranch_execz .LBB2_225
; %bb.46:
	v_dual_ashrrev_i32 v10, 31, v0 :: v_dual_bitop2_b32 v11, 31, v31 bitop3:0x40
	v_dual_ashrrev_i32 v21, 31, v20 :: v_dual_mov_b32 v33, 0
	s_delay_alu instid0(VALU_DEP_2)
	v_dual_lshlrev_b32 v34, 4, v0 :: v_dual_lshrrev_b32 v10, 27, v10
	v_lshlrev_b32_e32 v32, 3, v1
	s_lshr_b32 s4, s12, 27
	v_cmp_eq_u32_e32 vcc_lo, 32, v1
	s_add_co_i32 s10, s12, s4
	v_dual_add_nc_u32 v10, v0, v10 :: v_dual_lshrrev_b32 v28, 5, v1
	v_cmp_eq_u32_e64 s4, 0, v11
	v_mov_b64_e32 v[50:51], 0
	s_wait_dscnt 0x1
	v_cmp_eq_u64_e64 s7, 0, v[26:27]
	s_wait_dscnt 0x0
	v_and_b32_e32 v35, 0xffffffe0, v10
	v_ashrrev_i32_e32 v10, 5, v10
	v_mov_b64_e32 v[52:53], 0
	v_cmp_ge_i32_e64 s1, v0, v1
	v_cmp_ne_u32_e64 s2, 32, v1
	v_dual_sub_nc_u32 v83, v0, v35 :: v_dual_mov_b32 v37, v33
	v_sub_nc_u32_e32 v84, 0, v10
	v_mov_b64_e32 v[10:11], 0
	v_cmp_ne_u32_e64 s3, v1, v82
	v_dual_mov_b32 v29, v33 :: v_dual_ashrrev_i32 v35, 31, v34
	v_lshlrev_b32_e32 v36, 9, v28
	v_cmp_le_i32_e64 s5, v83, v49
	v_cmp_lt_i32_e64 s6, v83, v49
	v_dual_mov_b32 v39, v33 :: v_dual_lshlrev_b32 v38, 8, v28
	v_and_b32_e32 v48, 0xff00, v32
	v_dual_mov_b32 v49, v33 :: v_dual_mov_b32 v85, 1
	v_mov_b32_e32 v86, 0x90
	s_ashr_i32 s17, s10, 5
	s_mov_b32 s16, 0
	s_xor_b32 s18, vcc_lo, -1
	s_trap 2
	s_branch .LBB2_49
.LBB2_47:                               ;   in Loop: Header=BB2_49 Depth=1
	s_wait_xcnt 0x0
	s_or_b32 exec_lo, exec_lo, s10
.LBB2_48:                               ;   in Loop: Header=BB2_49 Depth=1
	s_delay_alu instid0(SALU_CYCLE_1) | instskip(SKIP_1) | instid1(VALU_DEP_1)
	s_or_b32 exec_lo, exec_lo, s20
	v_add_nc_u64_e32 v[52:53], v[52:53], v[12:13]
	v_cmp_ge_u64_e32 vcc_lo, v[52:53], v[4:5]
	s_or_b32 s16, vcc_lo, s16
	s_delay_alu instid0(SALU_CYCLE_1)
	s_and_not1_b32 exec_lo, exec_lo, s16
	s_cbranch_execz .LBB2_224
.LBB2_49:                               ; =>This Loop Header: Depth=1
                                        ;     Child Loop BB2_58 Depth 2
                                        ;     Child Loop BB2_86 Depth 2
	;; [unrolled: 1-line block ×10, first 2 shown]
	v_sub_nc_u64_e32 v[54:55], v[4:5], v[52:53]
	s_delay_alu instid0(VALU_DEP_1) | instskip(NEXT) | instid1(VALU_DEP_1)
	v_min_u64 v[54:55], v[12:13], v[54:55]
	v_add_nc_u32_e32 v32, 15, v54
	s_delay_alu instid0(VALU_DEP_2) | instskip(NEXT) | instid1(VALU_DEP_2)
	v_cmp_eq_u64_e32 vcc_lo, 0, v[54:55]
	v_and_b32_e32 v32, 0xffffff0, v32
	s_or_b32 s19, s1, vcc_lo
	s_delay_alu instid0(SALU_CYCLE_1) | instskip(NEXT) | instid1(VALU_DEP_1)
	s_xor_b32 s10, s19, -1
	v_dual_mov_b32 v32, 0 :: v_dual_max_i32 v55, s17, v32
	s_and_saveexec_b32 s20, s10
	s_cbranch_execz .LBB2_172
; %bb.50:                               ;   in Loop: Header=BB2_49 Depth=1
	s_and_saveexec_b32 s10, s0
	s_cbranch_execz .LBB2_52
; %bb.51:                               ;   in Loop: Header=BB2_49 Depth=1
	s_trap 2
	ds_load_b64 v[64:65], v0
	s_wait_dscnt 0x0
	v_lshl_add_u64 v[64:65], v[14:15], 3, v[64:65]
	s_delay_alu instid0(VALU_DEP_1)
	v_lshl_add_u64 v[64:65], v[52:53], 3, v[64:65]
	ds_store_b64 v0, v[64:65]
	ds_store_b64 v0, v[50:51]
.LBB2_52:                               ;   in Loop: Header=BB2_49 Depth=1
	s_or_b32 exec_lo, exec_lo, s10
	v_and_b32_e32 v32, 12, v30
	v_min_u32_e32 v55, v55, v54
	s_mov_b32 s21, exec_lo
	s_delay_alu instid0(VALU_DEP_2)
	v_cmpx_ne_u32_e32 0, v32
	s_cbranch_execz .LBB2_78
; %bb.53:                               ;   in Loop: Header=BB2_49 Depth=1
	v_and_b32_e32 v32, 8, v30
	v_add_nc_u64_e32 v[64:65], 1, v[8:9]
	s_mov_b32 s22, exec_lo
	s_wait_loadcnt 0x0
	s_delay_alu instid0(VALU_DEP_2) | instskip(NEXT) | instid1(VALU_DEP_1)
	v_add_nc_u64_e32 v[66:67], v[24:25], v[32:33]
	v_cmpx_lt_u64_e64 v[66:67], v[64:65]
	s_cbranch_execz .LBB2_65
; %bb.54:                               ;   in Loop: Header=BB2_49 Depth=1
	v_and_b32_e32 v9, 64, v30
	s_mov_b32 s23, 0
	s_mov_b32 s27, 0
                                        ; implicit-def: $sgpr24
                                        ; implicit-def: $sgpr25
                                        ; implicit-def: $sgpr26
	s_delay_alu instid0(VALU_DEP_1)
	v_cmp_eq_u32_e32 vcc_lo, 0, v9
	s_branch .LBB2_58
.LBB2_55:                               ;   in Loop: Header=BB2_58 Depth=2
	s_wait_loadcnt_dscnt 0x0
	v_add_nc_u64_e32 v[66:67], v[24:25], v[32:33]
	s_or_b32 s40, s40, exec_lo
	s_delay_alu instid0(VALU_DEP_1)
	v_cmp_ge_u64_e64 s10, v[66:67], v[64:65]
	s_or_not1_b32 s29, s10, exec_lo
.LBB2_56:                               ;   in Loop: Header=BB2_58 Depth=2
	s_or_b32 exec_lo, exec_lo, s42
	s_delay_alu instid0(SALU_CYCLE_1)
	s_and_not1_b32 s10, s26, exec_lo
	s_and_b32 s26, s40, exec_lo
	s_and_not1_b32 s25, s25, exec_lo
	s_and_b32 s29, s29, exec_lo
	s_or_b32 s26, s10, s26
	s_or_b32 s25, s25, s29
.LBB2_57:                               ;   in Loop: Header=BB2_58 Depth=2
	s_or_b32 exec_lo, exec_lo, s28
	s_delay_alu instid0(SALU_CYCLE_1) | instskip(NEXT) | instid1(SALU_CYCLE_1)
	s_and_b32 s10, exec_lo, s25
	s_or_b32 s23, s10, s23
	s_and_not1_b32 s10, s24, exec_lo
	s_and_b32 s24, s26, exec_lo
	s_delay_alu instid0(SALU_CYCLE_1)
	s_or_b32 s24, s10, s24
	s_and_not1_b32 exec_lo, exec_lo, s23
	s_cbranch_execz .LBB2_62
.LBB2_58:                               ;   Parent Loop BB2_49 Depth=1
                                        ; =>  This Inner Loop Header: Depth=2
	s_sleep 1
	s_wait_loadcnt_dscnt 0x0
	flat_load_b64 v[24:25], v[18:19] scope:SCOPE_SYS
	s_or_b32 s26, s26, exec_lo
	s_or_b32 s25, s25, exec_lo
                                        ; implicit-def: $vgpr9
	s_wait_xcnt 0x0
	s_and_saveexec_b32 s28, vcc_lo
	s_cbranch_execz .LBB2_57
; %bb.59:                               ;   in Loop: Header=BB2_58 Depth=2
	s_cmp_lt_i32 s27, 0x270f
	s_mov_b32 s29, -1
	s_cselect_b32 s41, -1, 0
	s_cmp_gt_i32 s27, 0x270e
	s_cbranch_scc0 .LBB2_61
; %bb.60:                               ;   in Loop: Header=BB2_58 Depth=2
	s_trap 2
	ds_load_b64 v[66:67], v0
	s_and_not1_b32 s27, s41, exec_lo
	s_mov_b32 s40, 0
	s_wait_storecnt 0x0
	s_wait_loadcnt_dscnt 0x0
	flat_load_b32 v9, v[66:67] scope:SCOPE_SYS
	s_wait_loadcnt_dscnt 0x0
	global_inv scope:SCOPE_SYS
	v_cmp_eq_u32_e64 s10, 0, v9
	s_and_b32 s10, s10, exec_lo
	s_delay_alu instid0(SALU_CYCLE_1)
	s_or_b32 s41, s27, s10
	s_mov_b32 s27, 0
	s_and_saveexec_b32 s42, s41
	s_cbranch_execz .LBB2_56
	s_branch .LBB2_55
.LBB2_61:                               ;   in Loop: Header=BB2_58 Depth=2
	s_add_co_i32 s27, s27, 1
	s_mov_b32 s40, -1
                                        ; implicit-def: $vgpr9
	s_and_saveexec_b32 s42, s41
	s_cbranch_execz .LBB2_56
	s_branch .LBB2_55
.LBB2_62:                               ;   in Loop: Header=BB2_49 Depth=1
	s_or_b32 exec_lo, exec_lo, s23
	s_xor_b32 s10, s24, -1
	s_delay_alu instid0(SALU_CYCLE_1) | instskip(NEXT) | instid1(SALU_CYCLE_1)
	s_and_saveexec_b32 s23, s10
	s_xor_b32 s10, exec_lo, s23
	s_cbranch_execz .LBB2_64
; %bb.63:                               ;   in Loop: Header=BB2_49 Depth=1
	v_or_b32_e32 v30, 64, v30
	s_wait_storecnt 0x0
	s_wait_loadcnt_dscnt 0x0
	ds_store_b32 v0, v9
	s_trap 2
.LBB2_64:                               ;   in Loop: Header=BB2_49 Depth=1
	s_or_b32 exec_lo, exec_lo, s10
.LBB2_65:                               ;   in Loop: Header=BB2_49 Depth=1
	s_delay_alu instid0(SALU_CYCLE_1) | instskip(SKIP_2) | instid1(VALU_DEP_1)
	s_or_b32 exec_lo, exec_lo, s22
	v_and_b32_e32 v9, 0x108, v30
	;;#ASMSTART
	s_wakeup
	;;#ASMEND
	v_cmp_ne_u32_e32 vcc_lo, 0x108, v9
	v_and_b32_e32 v8, 7, v8
	s_and_saveexec_b32 s10, vcc_lo
	s_delay_alu instid0(SALU_CYCLE_1)
	s_xor_b32 s10, exec_lo, s10
; %bb.66:                               ;   in Loop: Header=BB2_49 Depth=1
	v_mov_b32_e32 v9, v33
; %bb.67:                               ;   in Loop: Header=BB2_49 Depth=1
	s_and_not1_saveexec_b32 s10, s10
	s_cbranch_execz .LBB2_69
; %bb.68:                               ;   in Loop: Header=BB2_49 Depth=1
	v_mad_nc_u64_u32 v[66:67], v8, 24, v[6:7]
	v_dual_mov_b32 v69, v33 :: v_dual_lshlrev_b32 v68, 3, v55
	v_mov_b32_e32 v9, v33
	flat_store_b64 v[66:67], v[68:69] offset:8
.LBB2_69:                               ;   in Loop: Header=BB2_49 Depth=1
	s_wait_xcnt 0x0
	s_or_b32 exec_lo, exec_lo, s10
	v_and_b32_e32 v66, 0x100, v30
	s_mov_b32 s10, -1
	s_delay_alu instid0(VALU_DEP_1)
	v_cmp_ne_u32_e32 vcc_lo, 0, v66
                                        ; implicit-def: $vgpr66_vgpr67
	s_and_saveexec_b32 s22, vcc_lo
	s_cbranch_execz .LBB2_73
; %bb.70:                               ;   in Loop: Header=BB2_49 Depth=1
	v_mad_nc_u64_u32 v[68:69], v8, 24, v[6:7]
	s_delay_alu instid0(VALU_DEP_1)
	v_mad_u32 v69, v9, 24, v69
	flat_load_b32 v66, v[68:69]
	s_wait_loadcnt_dscnt 0x0
	v_cmp_eq_u32_e64 s10, 1, v66
	v_cmp_ne_u32_e32 vcc_lo, 1, v66
                                        ; implicit-def: $vgpr66_vgpr67
	s_wait_xcnt 0x0
	s_and_saveexec_b32 s23, s10
	s_cbranch_execz .LBB2_72
; %bb.71:                               ;   in Loop: Header=BB2_49 Depth=1
	flat_load_b32 v66, v[68:69] offset:4 scope:SCOPE_SYS
	s_wait_loadcnt_dscnt 0x0
	v_ashrrev_i32_e32 v67, 31, v66
	s_delay_alu instid0(VALU_DEP_1)
	v_lshrrev_b64 v[66:67], 3, v[66:67]
.LBB2_72:                               ;   in Loop: Header=BB2_49 Depth=1
	s_wait_xcnt 0x0
	s_or_b32 exec_lo, exec_lo, s23
	s_delay_alu instid0(SALU_CYCLE_1)
	s_or_not1_b32 s10, vcc_lo, exec_lo
.LBB2_73:                               ;   in Loop: Header=BB2_49 Depth=1
	s_or_b32 exec_lo, exec_lo, s22
	s_and_saveexec_b32 s22, s10
; %bb.74:                               ;   in Loop: Header=BB2_49 Depth=1
	v_mul_u64_e32 v[66:67], v[8:9], v[20:21]
; %bb.75:                               ;   in Loop: Header=BB2_49 Depth=1
	s_or_b32 exec_lo, exec_lo, s22
	v_cmp_eq_u32_e32 vcc_lo, 0, v32
	v_and_b32_e32 v68, 0x2000, v30
	s_delay_alu instid0(VALU_DEP_3) | instskip(SKIP_2) | instid1(VALU_DEP_1)
	v_lshl_add_u64 v[8:9], v[66:67], 3, v[22:23]
	s_mov_b32 s10, exec_lo
	v_cndmask_b32_e32 v32, 0xc8, v86, vcc_lo
	v_add_nc_u32_e32 v32, v0, v32
	ds_store_b64 v32, v[8:9] offset:584
	v_cmpx_ne_u32_e32 0, v68
	s_cbranch_execz .LBB2_77
; %bb.76:                               ;   in Loop: Header=BB2_49 Depth=1
	ds_load_b64 v[8:9], v0 offset:872
	s_wait_dscnt 0x0
	v_add_nc_u64_e32 v[8:9], 1, v[8:9]
	ds_store_b64 v0, v[8:9] offset:872
.LBB2_77:                               ;   in Loop: Header=BB2_49 Depth=1
	s_or_b32 exec_lo, exec_lo, s10
	v_mov_b64_e32 v[8:9], v[64:65]
.LBB2_78:                               ;   in Loop: Header=BB2_49 Depth=1
	s_or_b32 exec_lo, exec_lo, s21
	s_and_saveexec_b32 s10, s2
	s_cbranch_execz .LBB2_97
; %bb.79:                               ;   in Loop: Header=BB2_49 Depth=1
	s_and_saveexec_b32 s21, s3
	s_delay_alu instid0(SALU_CYCLE_1)
	s_xor_b32 s21, exec_lo, s21
	s_cbranch_execz .LBB2_94
; %bb.80:                               ;   in Loop: Header=BB2_49 Depth=1
	s_and_saveexec_b32 s22, s4
	s_cbranch_execz .LBB2_93
; %bb.81:                               ;   in Loop: Header=BB2_49 Depth=1
	s_mov_b32 s24, exec_lo
	s_mov_b32 s23, exec_lo
	v_mbcnt_lo_u32_b32 v32, s24, 0
	global_wb scope:SCOPE_DEV
	s_wait_storecnt 0x0
	s_wait_loadcnt_dscnt 0x0
	global_inv scope:SCOPE_DEV
	v_cmpx_eq_u32_e32 0, v32
	s_cbranch_execz .LBB2_83
; %bb.82:                               ;   in Loop: Header=BB2_49 Depth=1
	s_bcnt1_i32_b32 s24, s24
	s_delay_alu instid0(SALU_CYCLE_1)
	v_mov_b32_e32 v32, s24
	s_wait_loadcnt 0x0
	ds_add_u64 v0, v[32:33]
	s_trap 2
.LBB2_83:                               ;   in Loop: Header=BB2_49 Depth=1
	s_or_b32 exec_lo, exec_lo, s23
	s_trap 2
	ds_load_b64 v[64:65], v0
	s_wait_dscnt 0x0
	v_add_nc_u64_e32 v[10:11], v[10:11], v[28:29]
	s_mov_b32 s23, exec_lo
	s_delay_alu instid0(VALU_DEP_1)
	v_cmpx_lt_u64_e64 v[64:65], v[10:11]
	s_cbranch_execz .LBB2_92
; %bb.84:                               ;   in Loop: Header=BB2_49 Depth=1
	s_mov_b32 s24, 0
	s_mov_b32 s27, 0
                                        ; implicit-def: $sgpr25
                                        ; implicit-def: $sgpr26
	s_branch .LBB2_86
.LBB2_85:                               ;   in Loop: Header=BB2_86 Depth=2
	s_or_b32 exec_lo, exec_lo, s29
	s_delay_alu instid0(SALU_CYCLE_1) | instskip(NEXT) | instid1(SALU_CYCLE_1)
	s_and_b32 s28, exec_lo, s40
	s_or_b32 s24, s28, s24
	s_and_not1_b32 s25, s25, exec_lo
	s_and_b32 s28, s26, exec_lo
	s_delay_alu instid0(SALU_CYCLE_1)
	s_or_b32 s25, s25, s28
	s_and_not1_b32 exec_lo, exec_lo, s24
	s_cbranch_execz .LBB2_90
.LBB2_86:                               ;   Parent Loop BB2_49 Depth=1
                                        ; =>  This Inner Loop Header: Depth=2
	s_add_co_i32 s27, s27, 1
	s_delay_alu instid0(SALU_CYCLE_1) | instskip(SKIP_1) | instid1(SALU_CYCLE_1)
	s_cmp_lg_u32 s27, 0x2710
	s_cselect_b32 s28, -1, 0
	s_and_b32 vcc_lo, exec_lo, s28
	s_cbranch_vccz .LBB2_88
; %bb.87:                               ;   in Loop: Header=BB2_86 Depth=2
	s_mov_b32 s40, -1
	s_or_b32 s26, s26, exec_lo
	s_and_saveexec_b32 s29, s28
	s_cbranch_execz .LBB2_85
	s_branch .LBB2_89
.LBB2_88:                               ;   in Loop: Header=BB2_86 Depth=2
	s_trap 2
	ds_load_b64 v[64:65], v0
	s_and_not1_b32 s28, s28, exec_lo
	s_mov_b32 s27, 0
	s_wait_loadcnt_dscnt 0x0
	flat_load_b32 v32, v[64:65] scope:SCOPE_SYS
	s_wait_loadcnt_dscnt 0x0
	global_inv scope:SCOPE_SYS
	v_cmp_eq_u32_e32 vcc_lo, 0, v32
	s_and_b32 s29, vcc_lo, exec_lo
	s_delay_alu instid0(SALU_CYCLE_1)
	s_or_b32 s28, s28, s29
	s_mov_b32 s40, -1
	s_or_b32 s26, s26, exec_lo
	s_and_saveexec_b32 s29, s28
	s_cbranch_execz .LBB2_85
.LBB2_89:                               ;   in Loop: Header=BB2_86 Depth=2
	s_sleep 1
	s_trap 2
	ds_load_b64 v[64:65], v0
	s_wait_dscnt 0x0
	s_and_not1_b32 s26, s26, exec_lo
	v_cmp_ge_u64_e32 vcc_lo, v[64:65], v[10:11]
	s_or_not1_b32 s40, vcc_lo, exec_lo
	s_branch .LBB2_85
.LBB2_90:                               ;   in Loop: Header=BB2_49 Depth=1
	s_or_b32 exec_lo, exec_lo, s24
	s_and_saveexec_b32 s24, s25
	s_delay_alu instid0(SALU_CYCLE_1)
	s_xor_b32 s24, exec_lo, s24
	s_cbranch_execz .LBB2_92
; %bb.91:                               ;   in Loop: Header=BB2_49 Depth=1
	ds_store_b32 v0, v85
	s_trap 2
.LBB2_92:                               ;   in Loop: Header=BB2_49 Depth=1
	s_or_b32 exec_lo, exec_lo, s23
	;;#ASMSTART
	s_wakeup
	;;#ASMEND
.LBB2_93:                               ;   in Loop: Header=BB2_49 Depth=1
	s_or_b32 exec_lo, exec_lo, s22
.LBB2_94:                               ;   in Loop: Header=BB2_49 Depth=1
	s_and_not1_saveexec_b32 s21, s21
	s_cbranch_execz .LBB2_96
; %bb.95:                               ;   in Loop: Header=BB2_49 Depth=1
	global_wb scope:SCOPE_DEV
	s_wait_storecnt 0x0
	s_wait_loadcnt_dscnt 0x0
	global_inv scope:SCOPE_DEV
	s_barrier_signal -1
	s_barrier_wait -1
.LBB2_96:                               ;   in Loop: Header=BB2_49 Depth=1
	s_or_b32 exec_lo, exec_lo, s21
.LBB2_97:                               ;   in Loop: Header=BB2_49 Depth=1
	s_delay_alu instid0(SALU_CYCLE_1) | instskip(SKIP_3) | instid1(VALU_DEP_1)
	s_or_b32 exec_lo, exec_lo, s10
	s_trap 2
	ds_load_b32 v68, v0
	v_and_b32_e32 v32, 0x4000, v30
	v_cmp_ne_u32_e32 vcc_lo, 0, v32
	s_and_b32 s21, s18, vcc_lo
	s_delay_alu instid0(SALU_CYCLE_1)
	s_and_saveexec_b32 s10, s21
	s_cbranch_execz .LBB2_116
; %bb.98:                               ;   in Loop: Header=BB2_49 Depth=1
	s_and_saveexec_b32 s21, s3
	s_delay_alu instid0(SALU_CYCLE_1)
	s_xor_b32 s21, exec_lo, s21
	s_cbranch_execz .LBB2_113
; %bb.99:                               ;   in Loop: Header=BB2_49 Depth=1
	s_and_saveexec_b32 s22, s4
	s_cbranch_execz .LBB2_112
; %bb.100:                              ;   in Loop: Header=BB2_49 Depth=1
	s_mov_b32 s24, exec_lo
	s_mov_b32 s23, exec_lo
	v_mbcnt_lo_u32_b32 v32, s24, 0
	global_wb scope:SCOPE_DEV
	s_wait_storecnt 0x0
	s_wait_loadcnt_dscnt 0x0
	global_inv scope:SCOPE_DEV
	v_cmpx_eq_u32_e32 0, v32
	s_cbranch_execz .LBB2_102
; %bb.101:                              ;   in Loop: Header=BB2_49 Depth=1
	s_bcnt1_i32_b32 s24, s24
	s_delay_alu instid0(SALU_CYCLE_1)
	v_mov_b32_e32 v32, s24
	s_wait_loadcnt 0x0
	ds_add_u64 v0, v[32:33]
	s_trap 2
.LBB2_102:                              ;   in Loop: Header=BB2_49 Depth=1
	s_or_b32 exec_lo, exec_lo, s23
	s_trap 2
	ds_load_b64 v[64:65], v0
	s_wait_dscnt 0x0
	v_add_nc_u64_e32 v[10:11], v[10:11], v[28:29]
	s_mov_b32 s23, exec_lo
	s_delay_alu instid0(VALU_DEP_1)
	v_cmpx_lt_u64_e64 v[64:65], v[10:11]
	s_cbranch_execz .LBB2_111
; %bb.103:                              ;   in Loop: Header=BB2_49 Depth=1
	s_mov_b32 s24, 0
	s_mov_b32 s27, 0
                                        ; implicit-def: $sgpr25
                                        ; implicit-def: $sgpr26
	s_branch .LBB2_105
.LBB2_104:                              ;   in Loop: Header=BB2_105 Depth=2
	s_or_b32 exec_lo, exec_lo, s29
	s_delay_alu instid0(SALU_CYCLE_1) | instskip(NEXT) | instid1(SALU_CYCLE_1)
	s_and_b32 s28, exec_lo, s40
	s_or_b32 s24, s28, s24
	s_and_not1_b32 s25, s25, exec_lo
	s_and_b32 s28, s26, exec_lo
	s_delay_alu instid0(SALU_CYCLE_1)
	s_or_b32 s25, s25, s28
	s_and_not1_b32 exec_lo, exec_lo, s24
	s_cbranch_execz .LBB2_109
.LBB2_105:                              ;   Parent Loop BB2_49 Depth=1
                                        ; =>  This Inner Loop Header: Depth=2
	s_add_co_i32 s27, s27, 1
	s_delay_alu instid0(SALU_CYCLE_1) | instskip(SKIP_1) | instid1(SALU_CYCLE_1)
	s_cmp_lg_u32 s27, 0x2710
	s_cselect_b32 s28, -1, 0
	s_and_b32 vcc_lo, exec_lo, s28
	s_cbranch_vccz .LBB2_107
; %bb.106:                              ;   in Loop: Header=BB2_105 Depth=2
	s_mov_b32 s40, -1
	s_or_b32 s26, s26, exec_lo
	s_and_saveexec_b32 s29, s28
	s_cbranch_execz .LBB2_104
	s_branch .LBB2_108
.LBB2_107:                              ;   in Loop: Header=BB2_105 Depth=2
	s_trap 2
	ds_load_b64 v[64:65], v0
	s_and_not1_b32 s28, s28, exec_lo
	s_mov_b32 s27, 0
	s_wait_loadcnt_dscnt 0x0
	flat_load_b32 v32, v[64:65] scope:SCOPE_SYS
	s_wait_loadcnt_dscnt 0x0
	global_inv scope:SCOPE_SYS
	v_cmp_eq_u32_e32 vcc_lo, 0, v32
	s_and_b32 s29, vcc_lo, exec_lo
	s_delay_alu instid0(SALU_CYCLE_1)
	s_or_b32 s28, s28, s29
	s_mov_b32 s40, -1
	s_or_b32 s26, s26, exec_lo
	s_and_saveexec_b32 s29, s28
	s_cbranch_execz .LBB2_104
.LBB2_108:                              ;   in Loop: Header=BB2_105 Depth=2
	s_sleep 1
	s_trap 2
	ds_load_b64 v[64:65], v0
	s_wait_dscnt 0x0
	s_and_not1_b32 s26, s26, exec_lo
	v_cmp_ge_u64_e32 vcc_lo, v[64:65], v[10:11]
	s_or_not1_b32 s40, vcc_lo, exec_lo
	s_branch .LBB2_104
.LBB2_109:                              ;   in Loop: Header=BB2_49 Depth=1
	s_or_b32 exec_lo, exec_lo, s24
	s_and_saveexec_b32 s24, s25
	s_delay_alu instid0(SALU_CYCLE_1)
	s_xor_b32 s24, exec_lo, s24
	s_cbranch_execz .LBB2_111
; %bb.110:                              ;   in Loop: Header=BB2_49 Depth=1
	ds_store_b32 v0, v85
	s_trap 2
.LBB2_111:                              ;   in Loop: Header=BB2_49 Depth=1
	s_or_b32 exec_lo, exec_lo, s23
	;;#ASMSTART
	s_wakeup
	;;#ASMEND
.LBB2_112:                              ;   in Loop: Header=BB2_49 Depth=1
	s_or_b32 exec_lo, exec_lo, s22
.LBB2_113:                              ;   in Loop: Header=BB2_49 Depth=1
	s_and_not1_saveexec_b32 s21, s21
	s_cbranch_execz .LBB2_115
; %bb.114:                              ;   in Loop: Header=BB2_49 Depth=1
	global_wb scope:SCOPE_DEV
	s_wait_storecnt 0x0
	s_wait_loadcnt_dscnt 0x0
	global_inv scope:SCOPE_DEV
	s_barrier_signal -1
	s_barrier_wait -1
.LBB2_115:                              ;   in Loop: Header=BB2_49 Depth=1
	s_or_b32 exec_lo, exec_lo, s21
.LBB2_116:                              ;   in Loop: Header=BB2_49 Depth=1
	s_delay_alu instid0(SALU_CYCLE_1)
	s_or_b32 exec_lo, exec_lo, s10
	s_trap 2
	ds_load_b64 v[64:65], v0
	s_wait_dscnt 0x0
	v_cmp_eq_u64_e32 vcc_lo, 0, v[64:65]
	s_cbranch_vccnz .LBB2_124
; %bb.117:                              ;   in Loop: Header=BB2_49 Depth=1
	s_trap 2
	ds_load_b64 v[66:67], v0
	s_wait_dscnt 0x0
	v_cmp_eq_u64_e32 vcc_lo, 0, v[66:67]
	s_cbranch_vccnz .LBB2_124
; %bb.118:                              ;   in Loop: Header=BB2_49 Depth=1
	s_mov_b32 s10, -1
	s_and_saveexec_b32 s21, s5
	s_cbranch_execz .LBB2_120
; %bb.119:                              ;   in Loop: Header=BB2_49 Depth=1
	ds_load_b32 v32, v0 offset:720
	s_wait_dscnt 0x0
	v_and_b32_e32 v32, 15, v32
	s_delay_alu instid0(VALU_DEP_1)
	v_cmp_eq_u32_e32 vcc_lo, 0, v32
	s_or_not1_b32 s10, vcc_lo, exec_lo
.LBB2_120:                              ;   in Loop: Header=BB2_49 Depth=1
	s_or_b32 exec_lo, exec_lo, s21
	s_and_saveexec_b32 s21, s6
	s_cbranch_execz .LBB2_122
; %bb.121:                              ;   in Loop: Header=BB2_49 Depth=1
	ds_load_b32 v32, v0 offset:784
	s_wait_dscnt 0x0
	v_and_b32_e32 v32, 15, v32
	s_delay_alu instid0(VALU_DEP_1) | instskip(SKIP_3) | instid1(SALU_CYCLE_1)
	v_cmp_eq_u32_e32 vcc_lo, 0, v32
	s_and_b32 s22, s10, vcc_lo
	s_and_not1_b32 s10, s10, exec_lo
	s_and_b32 s22, s22, exec_lo
	s_or_b32 s10, s10, s22
.LBB2_122:                              ;   in Loop: Header=BB2_49 Depth=1
	s_or_b32 exec_lo, exec_lo, s21
	v_cmp_eq_u32_e32 vcc_lo, 0, v68
	s_xor_b32 s10, s10, -1
	s_mov_b32 s22, -1
	v_cndmask_b32_e64 v69, 0, 1, s10
	v_dual_mov_b32 v96, 0 :: v_dual_cndmask_b32 v32, 0, v55, vcc_lo
	s_delay_alu instid0(VALU_DEP_2) | instskip(NEXT) | instid1(VALU_DEP_2)
	v_cmp_ne_u32_e32 vcc_lo, 0, v69
	v_lshlrev_b32_e32 v87, 3, v32
	s_cbranch_vccz .LBB2_125
; %bb.123:                              ;   in Loop: Header=BB2_49 Depth=1
	v_dual_mov_b32 v68, v0 :: v_dual_mov_b32 v97, v83
	s_and_saveexec_b32 s21, s22
	s_cbranch_execnz .LBB2_138
	s_branch .LBB2_146
.LBB2_124:                              ;   in Loop: Header=BB2_49 Depth=1
	s_mov_b32 s10, 0
	s_and_saveexec_b32 s21, s2
	s_cbranch_execnz .LBB2_147
	s_branch .LBB2_165
.LBB2_125:                              ;   in Loop: Header=BB2_49 Depth=1
	v_lshrrev_b32_e32 v68, 6, v32
	s_mov_b32 s21, exec_lo
	s_delay_alu instid0(VALU_DEP_1) | instskip(NEXT) | instid1(VALU_DEP_1)
	v_dual_sub_nc_u32 v96, v87, v34 :: v_dual_lshlrev_b32 v99, 9, v68
	v_sub_nc_u32_e32 v101, v87, v99
	s_delay_alu instid0(VALU_DEP_1) | instskip(SKIP_1) | instid1(VALU_DEP_4)
	v_cmp_lt_i32_e32 vcc_lo, 15, v101
	v_add_co_ci_u32_e64 v100, null, v68, v84, vcc_lo
	v_cmpx_lt_i32_e32 15, v96
	s_cbranch_execz .LBB2_129
; %bb.126:                              ;   in Loop: Header=BB2_49 Depth=1
	s_trap 2
	ds_load_b64 v[70:71], v0
	v_add_nc_u64_e32 v[68:69], v[64:65], v[34:35]
	v_add_nc_u64_e32 v[80:81], v[66:67], v[34:35]
	s_mov_b32 s22, 0
	s_wait_dscnt 0x0
	v_add_nc_u64_e32 v[70:71], v[70:71], v[34:35]
.LBB2_127:                              ;   Parent Loop BB2_49 Depth=1
                                        ; =>  This Inner Loop Header: Depth=2
	global_load_b128 v[112:115], v[68:69], off th:TH_LOAD_NT
	global_load_b128 v[116:119], v[70:71], off th:TH_LOAD_NT
	v_sub_nc_u32_e32 v96, v96, v36
	s_wait_xcnt 0x1
	v_add_nc_u64_e32 v[68:69], v[68:69], v[36:37]
	s_wait_xcnt 0x0
	v_add_nc_u64_e32 v[70:71], v[70:71], v[36:37]
	v_sub_nc_u32_e32 v100, v100, v28
	v_cmp_gt_i32_e64 s10, 16, v96
	s_or_b32 s22, s10, s22
	s_wait_loadcnt 0x0
	v_mul_u64_e32 v[112:113], v[116:117], v[112:113]
	v_mul_u64_e32 v[114:115], v[118:119], v[114:115]
	global_store_b128 v[80:81], v[112:115], off th:TH_STORE_NT
	s_wait_xcnt 0x0
	v_add_nc_u64_e32 v[80:81], v[80:81], v[36:37]
	s_and_not1_b32 exec_lo, exec_lo, s22
	s_cbranch_execnz .LBB2_127
; %bb.128:                              ;   in Loop: Header=BB2_49 Depth=1
	s_or_b32 exec_lo, exec_lo, s22
.LBB2_129:                              ;   in Loop: Header=BB2_49 Depth=1
	s_delay_alu instid0(SALU_CYCLE_1) | instskip(SKIP_3) | instid1(VALU_DEP_1)
	s_or_b32 exec_lo, exec_lo, s21
	v_dual_mov_b32 v96, 0 :: v_dual_bitop2_b32 v69, 8, v87 bitop3:0x40
	s_mov_b32 s22, 0
	s_mov_b32 s21, exec_lo
                                        ; implicit-def: $vgpr87
                                        ; implicit-def: $vgpr68
                                        ; implicit-def: $vgpr97
	v_cndmask_b32_e32 v98, v101, v69, vcc_lo
	s_delay_alu instid0(VALU_DEP_1)
	v_cmpx_ne_u32_e32 0, v98
	s_cbranch_execz .LBB2_137
; %bb.130:                              ;   in Loop: Header=BB2_49 Depth=1
	v_cmp_lt_i32_e64 s10, 0, v100
	s_mov_b32 s22, exec_lo
	v_dual_ashrrev_i32 v71, 31, v98 :: v_dual_sub_nc_u32 v69, v101, v69
	s_delay_alu instid0(VALU_DEP_1) | instskip(NEXT) | instid1(VALU_DEP_1)
	v_dual_cndmask_b32 v68, 0, v28, s10 :: v_dual_lshrrev_b32 v71, 23, v71
	v_dual_sub_nc_u32 v68, v68, v100 :: v_dual_add_nc_u32 v71, v98, v71
	s_delay_alu instid0(VALU_DEP_1) | instskip(NEXT) | instid1(VALU_DEP_2)
	v_lshl_add_u32 v68, v68, 5, v83
	v_and_b32_e32 v100, 0xfffffe00, v71
	s_delay_alu instid0(VALU_DEP_2) | instskip(NEXT) | instid1(VALU_DEP_1)
	v_dual_ashrrev_i32 v71, 9, v71 :: v_dual_ashrrev_i32 v70, 31, v68
	v_dual_sub_nc_u32 v101, v98, v100 :: v_dual_lshrrev_b32 v70, 27, v70
	s_delay_alu instid0(VALU_DEP_1) | instskip(NEXT) | instid1(VALU_DEP_1)
	v_add_nc_u32_e32 v70, v68, v70
	v_and_b32_e32 v80, 0xffffffe0, v70
	s_delay_alu instid0(VALU_DEP_1) | instskip(NEXT) | instid1(VALU_DEP_1)
	v_dual_ashrrev_i32 v70, 5, v70 :: v_dual_sub_nc_u32 v102, v68, v80
	v_lshlrev_b32_e32 v68, 4, v102
	s_delay_alu instid0(VALU_DEP_1) | instskip(SKIP_2) | instid1(VALU_DEP_3)
	v_lshl_add_u32 v68, v70, 9, v68
	v_cndmask_b32_e32 v69, 0, v69, vcc_lo
	v_cmp_lt_i32_e32 vcc_lo, 15, v101
	v_sub_nc_u32_e32 v87, v98, v68
	v_add_co_ci_u32_e64 v71, null, 0, v71, vcc_lo
	s_delay_alu instid0(VALU_DEP_1) | instskip(NEXT) | instid1(VALU_DEP_3)
	v_dual_add_nc_u32 v99, v69, v99 :: v_dual_sub_nc_u32 v103, v71, v70
	v_cmpx_lt_i32_e32 15, v87
	s_cbranch_execz .LBB2_134
; %bb.131:                              ;   in Loop: Header=BB2_49 Depth=1
	s_trap 2
	ds_load_b64 v[70:71], v0
	v_add_nc_u32_e32 v80, v68, v99
	s_mov_b32 s23, 0
	s_delay_alu instid0(VALU_DEP_1) | instskip(NEXT) | instid1(VALU_DEP_1)
	v_ashrrev_i32_e32 v81, 31, v80
	v_add_nc_u64_e32 v[68:69], v[80:81], v[64:65]
	s_wait_dscnt 0x0
	v_add_nc_u64_e32 v[70:71], v[70:71], v[80:81]
	v_add_nc_u64_e32 v[80:81], v[80:81], v[66:67]
.LBB2_132:                              ;   Parent Loop BB2_49 Depth=1
                                        ; =>  This Inner Loop Header: Depth=2
	global_load_b128 v[112:115], v[68:69], off th:TH_LOAD_NT
	global_load_b128 v[116:119], v[70:71], off th:TH_LOAD_NT
	v_sub_nc_u32_e32 v87, v87, v36
	s_wait_xcnt 0x1
	v_add_nc_u64_e32 v[68:69], v[68:69], v[36:37]
	s_wait_xcnt 0x0
	v_add_nc_u64_e32 v[70:71], v[70:71], v[36:37]
	v_sub_nc_u32_e32 v103, v103, v28
	v_cmp_gt_i32_e64 s10, 16, v87
	s_or_b32 s23, s10, s23
	s_wait_loadcnt 0x0
	v_mul_u64_e32 v[112:113], v[116:117], v[112:113]
	v_mul_u64_e32 v[114:115], v[118:119], v[114:115]
	global_store_b128 v[80:81], v[112:115], off th:TH_STORE_NT
	s_wait_xcnt 0x0
	v_add_nc_u64_e32 v[80:81], v[80:81], v[36:37]
	s_and_not1_b32 exec_lo, exec_lo, s23
	s_cbranch_execnz .LBB2_132
; %bb.133:                              ;   in Loop: Header=BB2_49 Depth=1
	s_or_b32 exec_lo, exec_lo, s23
.LBB2_134:                              ;   in Loop: Header=BB2_49 Depth=1
	s_delay_alu instid0(SALU_CYCLE_1) | instskip(SKIP_3) | instid1(VALU_DEP_1)
	s_or_b32 exec_lo, exec_lo, s22
	v_dual_mov_b32 v96, 0 :: v_dual_bitop2_b32 v69, 8, v98 bitop3:0x40
	s_mov_b32 s22, 0
	s_mov_b32 s23, exec_lo
                                        ; implicit-def: $vgpr68
                                        ; implicit-def: $vgpr97
	v_cndmask_b32_e32 v87, v101, v69, vcc_lo
	s_delay_alu instid0(VALU_DEP_1)
	v_cmpx_ne_u32_e32 0, v87
	s_cbranch_execz .LBB2_136
; %bb.135:                              ;   in Loop: Header=BB2_49 Depth=1
	v_cmp_lt_i32_e64 s10, 0, v103
	s_mov_b32 s22, exec_lo
	v_dual_sub_nc_u32 v69, v101, v69 :: v_dual_cndmask_b32 v68, 0, v28, s10
	s_delay_alu instid0(VALU_DEP_1) | instskip(NEXT) | instid1(VALU_DEP_1)
	v_dual_cndmask_b32 v69, 0, v69 :: v_dual_sub_nc_u32 v68, v68, v103
	v_add3_u32 v96, v100, v99, v69
	s_delay_alu instid0(VALU_DEP_2) | instskip(NEXT) | instid1(VALU_DEP_1)
	v_lshl_add_u32 v68, v68, 5, v102
	v_ashrrev_i32_e32 v70, 31, v68
	s_delay_alu instid0(VALU_DEP_1) | instskip(NEXT) | instid1(VALU_DEP_1)
	v_lshrrev_b32_e32 v70, 27, v70
	v_add_nc_u32_e32 v70, v68, v70
	s_delay_alu instid0(VALU_DEP_1) | instskip(NEXT) | instid1(VALU_DEP_1)
	v_and_b32_e32 v70, 0xffffffe0, v70
	v_sub_nc_u32_e32 v97, v68, v70
.LBB2_136:                              ;   in Loop: Header=BB2_49 Depth=1
	s_or_b32 exec_lo, exec_lo, s23
	s_delay_alu instid0(SALU_CYCLE_1)
	s_and_b32 s22, s22, exec_lo
.LBB2_137:                              ;   in Loop: Header=BB2_49 Depth=1
	s_or_b32 exec_lo, exec_lo, s21
	s_and_saveexec_b32 s21, s22
	s_cbranch_execz .LBB2_146
.LBB2_138:                              ;   in Loop: Header=BB2_49 Depth=1
	s_delay_alu instid0(VALU_DEP_1) | instskip(SKIP_1) | instid1(VALU_DEP_1)
	v_dual_ashrrev_i32 v69, 31, v68 :: v_dual_ashrrev_i32 v70, 31, v87
	s_mov_b32 s22, exec_lo
	v_dual_lshrrev_b32 v69, 27, v69 :: v_dual_lshrrev_b32 v70, 24, v70
	s_delay_alu instid0(VALU_DEP_1) | instskip(NEXT) | instid1(VALU_DEP_1)
	v_dual_add_nc_u32 v68, v68, v69 :: v_dual_add_nc_u32 v69, v87, v70
	v_dual_ashrrev_i32 v70, 5, v68 :: v_dual_lshlrev_b32 v68, 3, v97
	s_delay_alu instid0(VALU_DEP_2) | instskip(SKIP_1) | instid1(VALU_DEP_3)
	v_and_b32_e32 v98, 0xffffff00, v69
	v_ashrrev_i32_e32 v69, 8, v69
	v_lshl_add_u32 v68, v70, 8, v68
	s_delay_alu instid0(VALU_DEP_3) | instskip(NEXT) | instid1(VALU_DEP_2)
	v_sub_nc_u32_e32 v99, v87, v98
	v_dual_sub_nc_u32 v69, v69, v70 :: v_dual_sub_nc_u32 v101, v87, v68
	s_delay_alu instid0(VALU_DEP_2) | instskip(NEXT) | instid1(VALU_DEP_2)
	v_cmp_lt_i32_e32 vcc_lo, 7, v99
	v_add_co_ci_u32_e64 v100, null, 0, v69, vcc_lo
	s_delay_alu instid0(VALU_DEP_3)
	v_cmpx_lt_i32_e32 7, v101
	s_cbranch_execz .LBB2_142
; %bb.139:                              ;   in Loop: Header=BB2_49 Depth=1
	s_trap 2
	ds_load_b64 v[70:71], v0
	v_add_nc_u32_e32 v80, v68, v96
	s_mov_b32 s23, 0
	s_delay_alu instid0(VALU_DEP_1) | instskip(NEXT) | instid1(VALU_DEP_1)
	v_ashrrev_i32_e32 v81, 31, v80
	v_add_nc_u64_e32 v[68:69], v[80:81], v[64:65]
	s_wait_dscnt 0x0
	v_add_nc_u64_e32 v[70:71], v[70:71], v[80:81]
	v_add_nc_u64_e32 v[80:81], v[80:81], v[66:67]
.LBB2_140:                              ;   Parent Loop BB2_49 Depth=1
                                        ; =>  This Inner Loop Header: Depth=2
	flat_load_b64 v[102:103], v[68:69] th:TH_LOAD_NT
	flat_load_b64 v[112:113], v[70:71] th:TH_LOAD_NT
	v_dual_sub_nc_u32 v101, v101, v38 :: v_dual_sub_nc_u32 v100, v100, v28
	s_wait_xcnt 0x1
	v_add_nc_u64_e32 v[68:69], v[68:69], v[38:39]
	s_wait_xcnt 0x0
	v_add_nc_u64_e32 v[70:71], v[70:71], v[38:39]
	v_cmp_gt_i32_e64 s10, 8, v101
	s_or_b32 s23, s10, s23
	s_wait_loadcnt_dscnt 0x0
	v_mul_u64_e32 v[102:103], v[112:113], v[102:103]
	flat_store_b64 v[80:81], v[102:103] th:TH_STORE_NT
	s_wait_xcnt 0x0
	v_add_nc_u64_e32 v[80:81], v[80:81], v[38:39]
	s_and_not1_b32 exec_lo, exec_lo, s23
	s_cbranch_execnz .LBB2_140
; %bb.141:                              ;   in Loop: Header=BB2_49 Depth=1
	s_or_b32 exec_lo, exec_lo, s23
.LBB2_142:                              ;   in Loop: Header=BB2_49 Depth=1
	s_delay_alu instid0(SALU_CYCLE_1) | instskip(SKIP_1) | instid1(VALU_DEP_1)
	s_or_b32 exec_lo, exec_lo, s22
	v_and_b32_e32 v68, 7, v87
	v_cndmask_b32_e32 v70, v99, v68, vcc_lo
	s_delay_alu instid0(VALU_DEP_1)
	v_cmp_ne_u32_e64 s10, 0, v70
	s_and_b32 exec_lo, exec_lo, s10
	s_cbranch_execz .LBB2_146
; %bb.143:                              ;   in Loop: Header=BB2_49 Depth=1
	v_cmp_lt_i32_e64 s10, 0, v100
	s_delay_alu instid0(VALU_DEP_1) | instskip(NEXT) | instid1(VALU_DEP_1)
	v_cndmask_b32_e64 v69, 0, v28, s10
	v_sub_nc_u32_e32 v69, v69, v100
	s_delay_alu instid0(VALU_DEP_1) | instskip(NEXT) | instid1(VALU_DEP_1)
	v_lshl_add_u32 v69, v69, 5, v97
	v_ashrrev_i32_e32 v71, 31, v69
	s_delay_alu instid0(VALU_DEP_1) | instskip(NEXT) | instid1(VALU_DEP_1)
	v_lshrrev_b32_e32 v71, 27, v71
	v_add_nc_u32_e32 v71, v69, v71
	s_delay_alu instid0(VALU_DEP_1) | instskip(NEXT) | instid1(VALU_DEP_1)
	v_and_b32_e32 v80, 0x1fffffe0, v71
	v_dual_lshlrev_b32 v71, 3, v71 :: v_dual_sub_nc_u32 v69, v69, v80
	s_delay_alu instid0(VALU_DEP_1) | instskip(NEXT) | instid1(VALU_DEP_1)
	v_and_b32_e32 v71, 0xffffff00, v71
	v_lshl_add_u32 v69, v69, 3, v71
	s_delay_alu instid0(VALU_DEP_1) | instskip(NEXT) | instid1(VALU_DEP_1)
	v_sub_nc_u32_e32 v70, v70, v69
	v_cmp_lt_i32_e64 s10, 7, v70
	s_and_b32 exec_lo, exec_lo, s10
	s_cbranch_execz .LBB2_146
; %bb.144:                              ;   in Loop: Header=BB2_49 Depth=1
	v_sub_nc_u32_e32 v68, v99, v68
	s_trap 2
	ds_load_b64 v[80:81], v0
	v_add_nc_u32_e32 v71, v98, v96
	s_mov_b32 s10, 0
	v_cndmask_b32_e32 v68, 0, v68, vcc_lo
	s_delay_alu instid0(VALU_DEP_1) | instskip(NEXT) | instid1(VALU_DEP_1)
	v_add3_u32 v96, v71, v68, v69
	v_ashrrev_i32_e32 v97, 31, v96
	s_delay_alu instid0(VALU_DEP_1)
	v_add_nc_u64_e32 v[64:65], v[96:97], v[64:65]
	v_add_nc_u64_e32 v[66:67], v[96:97], v[66:67]
	s_wait_dscnt 0x0
	v_add_nc_u64_e32 v[68:69], v[80:81], v[96:97]
.LBB2_145:                              ;   Parent Loop BB2_49 Depth=1
                                        ; =>  This Inner Loop Header: Depth=2
	flat_load_b64 v[80:81], v[64:65] th:TH_LOAD_NT
	flat_load_b64 v[96:97], v[68:69] th:TH_LOAD_NT
	v_sub_nc_u32_e32 v70, v70, v48
	s_wait_xcnt 0x1
	v_add_nc_u64_e32 v[64:65], v[64:65], v[48:49]
	s_wait_xcnt 0x0
	v_add_nc_u64_e32 v[68:69], v[68:69], v[48:49]
	v_cmp_gt_i32_e32 vcc_lo, 8, v70
	s_or_b32 s10, vcc_lo, s10
	s_wait_loadcnt_dscnt 0x0
	v_mul_u64_e32 v[80:81], v[96:97], v[80:81]
	flat_store_b64 v[66:67], v[80:81] th:TH_STORE_NT
	s_wait_xcnt 0x0
	v_add_nc_u64_e32 v[66:67], v[66:67], v[48:49]
	s_and_not1_b32 exec_lo, exec_lo, s10
	s_cbranch_execnz .LBB2_145
.LBB2_146:                              ;   in Loop: Header=BB2_49 Depth=1
	s_or_b32 exec_lo, exec_lo, s21
	v_cmp_ne_u32_e64 s10, 0, v32
	s_and_saveexec_b32 s21, s2
	s_cbranch_execz .LBB2_165
.LBB2_147:                              ;   in Loop: Header=BB2_49 Depth=1
	s_and_saveexec_b32 s22, s3
	s_delay_alu instid0(SALU_CYCLE_1)
	s_xor_b32 s22, exec_lo, s22
	s_cbranch_execz .LBB2_162
; %bb.148:                              ;   in Loop: Header=BB2_49 Depth=1
	s_and_saveexec_b32 s23, s4
	s_cbranch_execz .LBB2_161
; %bb.149:                              ;   in Loop: Header=BB2_49 Depth=1
	s_mov_b32 s25, exec_lo
	s_mov_b32 s24, exec_lo
	v_mbcnt_lo_u32_b32 v32, s25, 0
	global_wb scope:SCOPE_DEV
	s_wait_storecnt 0x0
	s_wait_loadcnt_dscnt 0x0
	global_inv scope:SCOPE_DEV
	v_cmpx_eq_u32_e32 0, v32
	s_cbranch_execz .LBB2_151
; %bb.150:                              ;   in Loop: Header=BB2_49 Depth=1
	s_bcnt1_i32_b32 s25, s25
	s_delay_alu instid0(SALU_CYCLE_1)
	v_mov_b32_e32 v32, s25
	s_wait_loadcnt 0x0
	ds_add_u64 v0, v[32:33]
	s_trap 2
.LBB2_151:                              ;   in Loop: Header=BB2_49 Depth=1
	s_or_b32 exec_lo, exec_lo, s24
	s_trap 2
	ds_load_b64 v[64:65], v0
	s_wait_dscnt 0x0
	v_add_nc_u64_e32 v[10:11], v[10:11], v[28:29]
	s_mov_b32 s24, exec_lo
	s_delay_alu instid0(VALU_DEP_1)
	v_cmpx_lt_u64_e64 v[64:65], v[10:11]
	s_cbranch_execz .LBB2_160
; %bb.152:                              ;   in Loop: Header=BB2_49 Depth=1
	s_mov_b32 s25, 0
	s_mov_b32 s28, 0
                                        ; implicit-def: $sgpr26
                                        ; implicit-def: $sgpr27
	s_branch .LBB2_154
.LBB2_153:                              ;   in Loop: Header=BB2_154 Depth=2
	s_or_b32 exec_lo, exec_lo, s40
	s_delay_alu instid0(SALU_CYCLE_1) | instskip(NEXT) | instid1(SALU_CYCLE_1)
	s_and_b32 s29, exec_lo, s41
	s_or_b32 s25, s29, s25
	s_and_not1_b32 s26, s26, exec_lo
	s_and_b32 s29, s27, exec_lo
	s_delay_alu instid0(SALU_CYCLE_1)
	s_or_b32 s26, s26, s29
	s_and_not1_b32 exec_lo, exec_lo, s25
	s_cbranch_execz .LBB2_158
.LBB2_154:                              ;   Parent Loop BB2_49 Depth=1
                                        ; =>  This Inner Loop Header: Depth=2
	s_add_co_i32 s28, s28, 1
	s_delay_alu instid0(SALU_CYCLE_1) | instskip(SKIP_1) | instid1(SALU_CYCLE_1)
	s_cmp_lg_u32 s28, 0x2710
	s_cselect_b32 s29, -1, 0
	s_and_b32 vcc_lo, exec_lo, s29
	s_cbranch_vccz .LBB2_156
; %bb.155:                              ;   in Loop: Header=BB2_154 Depth=2
	s_mov_b32 s41, -1
	s_or_b32 s27, s27, exec_lo
	s_and_saveexec_b32 s40, s29
	s_cbranch_execz .LBB2_153
	s_branch .LBB2_157
.LBB2_156:                              ;   in Loop: Header=BB2_154 Depth=2
	s_trap 2
	ds_load_b64 v[64:65], v0
	s_and_not1_b32 s29, s29, exec_lo
	s_mov_b32 s28, 0
	s_wait_loadcnt_dscnt 0x0
	flat_load_b32 v32, v[64:65] scope:SCOPE_SYS
	s_wait_loadcnt_dscnt 0x0
	global_inv scope:SCOPE_SYS
	v_cmp_eq_u32_e32 vcc_lo, 0, v32
	s_and_b32 s40, vcc_lo, exec_lo
	s_delay_alu instid0(SALU_CYCLE_1)
	s_or_b32 s29, s29, s40
	s_mov_b32 s41, -1
	s_or_b32 s27, s27, exec_lo
	s_and_saveexec_b32 s40, s29
	s_cbranch_execz .LBB2_153
.LBB2_157:                              ;   in Loop: Header=BB2_154 Depth=2
	s_sleep 1
	s_trap 2
	ds_load_b64 v[64:65], v0
	s_wait_dscnt 0x0
	s_and_not1_b32 s27, s27, exec_lo
	v_cmp_ge_u64_e32 vcc_lo, v[64:65], v[10:11]
	s_or_not1_b32 s41, vcc_lo, exec_lo
	s_branch .LBB2_153
.LBB2_158:                              ;   in Loop: Header=BB2_49 Depth=1
	s_or_b32 exec_lo, exec_lo, s25
	s_and_saveexec_b32 s25, s26
	s_delay_alu instid0(SALU_CYCLE_1)
	s_xor_b32 s25, exec_lo, s25
	s_cbranch_execz .LBB2_160
; %bb.159:                              ;   in Loop: Header=BB2_49 Depth=1
	ds_store_b32 v0, v85
	s_trap 2
.LBB2_160:                              ;   in Loop: Header=BB2_49 Depth=1
	s_or_b32 exec_lo, exec_lo, s24
	;;#ASMSTART
	s_wakeup
	;;#ASMEND
.LBB2_161:                              ;   in Loop: Header=BB2_49 Depth=1
	s_or_b32 exec_lo, exec_lo, s23
.LBB2_162:                              ;   in Loop: Header=BB2_49 Depth=1
	s_and_not1_saveexec_b32 s22, s22
	s_cbranch_execz .LBB2_164
; %bb.163:                              ;   in Loop: Header=BB2_49 Depth=1
	global_wb scope:SCOPE_DEV
	s_wait_storecnt 0x0
	s_wait_loadcnt_dscnt 0x0
	global_inv scope:SCOPE_DEV
	s_barrier_signal -1
	s_barrier_wait -1
.LBB2_164:                              ;   in Loop: Header=BB2_49 Depth=1
	s_or_b32 exec_lo, exec_lo, s22
.LBB2_165:                              ;   in Loop: Header=BB2_49 Depth=1
	s_delay_alu instid0(SALU_CYCLE_1) | instskip(SKIP_1) | instid1(VALU_DEP_1)
	s_or_b32 exec_lo, exec_lo, s21
	v_and_b32_e32 v32, 16, v30
	v_cmp_ne_u32_e32 vcc_lo, 0, v32
	s_and_b32 s21, vcc_lo, s10
	s_delay_alu instid0(SALU_CYCLE_1)
	s_and_saveexec_b32 s10, s21
	s_cbranch_execz .LBB2_167
; %bb.166:                              ;   in Loop: Header=BB2_49 Depth=1
	global_wb scope:SCOPE_SYS
	s_wait_storecnt 0x0
	s_wait_loadcnt_dscnt 0x0
	global_inv scope:SCOPE_SYS
.LBB2_167:                              ;   in Loop: Header=BB2_49 Depth=1
	s_or_b32 exec_lo, exec_lo, s10
	v_cmp_ne_u32_e32 vcc_lo, 0, v32
	s_xor_b32 s10, s7, -1
	s_delay_alu instid0(SALU_CYCLE_1) | instskip(NEXT) | instid1(SALU_CYCLE_1)
	s_and_b32 s21, vcc_lo, s10
	s_and_saveexec_b32 s10, s21
	s_cbranch_execz .LBB2_169
; %bb.168:                              ;   in Loop: Header=BB2_49 Depth=1
	global_wb scope:SCOPE_SYS
	s_wait_storecnt 0x0
	s_wait_loadcnt_dscnt 0x0
	flat_store_b32 v[26:27], v85 scope:SCOPE_SYS
.LBB2_169:                              ;   in Loop: Header=BB2_49 Depth=1
	s_wait_xcnt 0x0
	s_or_b32 exec_lo, exec_lo, s10
	v_and_b32_e32 v32, 48, v30
	s_mov_b32 s10, exec_lo
	s_delay_alu instid0(VALU_DEP_1)
	v_cmpx_ne_u32_e32 0, v32
	s_cbranch_execz .LBB2_171
; %bb.170:                              ;   in Loop: Header=BB2_49 Depth=1
	v_add_nc_u64_e32 v[8:9], 1, v[8:9]
	global_wb scope:SCOPE_SYS
	s_wait_storecnt 0x0
	s_wait_loadcnt_dscnt 0x0
	flat_store_b64 v[18:19], v[8:9] scope:SCOPE_SYS
.LBB2_171:                              ;   in Loop: Header=BB2_49 Depth=1
	s_wait_xcnt 0x0
	s_or_b32 exec_lo, exec_lo, s10
	v_mov_b32_e32 v32, v55
.LBB2_172:                              ;   in Loop: Header=BB2_49 Depth=1
	s_or_b32 exec_lo, exec_lo, s20
	s_and_saveexec_b32 s20, s19
	s_cbranch_execz .LBB2_48
; %bb.173:                              ;   in Loop: Header=BB2_49 Depth=1
	s_delay_alu instid0(VALU_DEP_1) | instskip(SKIP_1) | instid1(VALU_DEP_1)
	v_dual_sub_nc_u32 v32, v54, v32 :: v_dual_bitop2_b32 v64, 12, v30 bitop3:0x40
	s_mov_b32 s19, exec_lo
	v_min_i32_e32 v54, v55, v32
	s_delay_alu instid0(VALU_DEP_2)
	v_cmpx_ne_u32_e32 0, v64
	s_cbranch_execz .LBB2_199
; %bb.174:                              ;   in Loop: Header=BB2_49 Depth=1
	v_and_b32_e32 v32, 8, v30
	v_add_nc_u64_e32 v[64:65], 1, v[8:9]
	s_mov_b32 s21, exec_lo
	s_wait_loadcnt 0x0
	s_delay_alu instid0(VALU_DEP_2) | instskip(NEXT) | instid1(VALU_DEP_1)
	v_add_nc_u64_e32 v[66:67], v[24:25], v[32:33]
	v_cmpx_lt_u64_e64 v[66:67], v[64:65]
	s_cbranch_execz .LBB2_186
; %bb.175:                              ;   in Loop: Header=BB2_49 Depth=1
	v_and_b32_e32 v9, 64, v30
	s_mov_b32 s22, 0
	s_mov_b32 s26, 0
                                        ; implicit-def: $sgpr23
                                        ; implicit-def: $sgpr24
                                        ; implicit-def: $sgpr25
	s_delay_alu instid0(VALU_DEP_1)
	v_cmp_eq_u32_e32 vcc_lo, 0, v9
	s_branch .LBB2_179
.LBB2_176:                              ;   in Loop: Header=BB2_179 Depth=2
	s_wait_loadcnt_dscnt 0x0
	v_add_nc_u64_e32 v[66:67], v[24:25], v[32:33]
	s_or_b32 s29, s29, exec_lo
	s_delay_alu instid0(VALU_DEP_1)
	v_cmp_ge_u64_e64 s10, v[66:67], v[64:65]
	s_or_not1_b32 s28, s10, exec_lo
.LBB2_177:                              ;   in Loop: Header=BB2_179 Depth=2
	s_or_b32 exec_lo, exec_lo, s41
	s_delay_alu instid0(SALU_CYCLE_1)
	s_and_not1_b32 s10, s25, exec_lo
	s_and_b32 s25, s29, exec_lo
	s_and_not1_b32 s24, s24, exec_lo
	s_and_b32 s28, s28, exec_lo
	s_or_b32 s25, s10, s25
	s_or_b32 s24, s24, s28
.LBB2_178:                              ;   in Loop: Header=BB2_179 Depth=2
	s_or_b32 exec_lo, exec_lo, s27
	s_delay_alu instid0(SALU_CYCLE_1) | instskip(NEXT) | instid1(SALU_CYCLE_1)
	s_and_b32 s10, exec_lo, s24
	s_or_b32 s22, s10, s22
	s_and_not1_b32 s10, s23, exec_lo
	s_and_b32 s23, s25, exec_lo
	s_delay_alu instid0(SALU_CYCLE_1)
	s_or_b32 s23, s10, s23
	s_and_not1_b32 exec_lo, exec_lo, s22
	s_cbranch_execz .LBB2_183
.LBB2_179:                              ;   Parent Loop BB2_49 Depth=1
                                        ; =>  This Inner Loop Header: Depth=2
	s_sleep 1
	s_wait_loadcnt_dscnt 0x0
	flat_load_b64 v[24:25], v[18:19] scope:SCOPE_SYS
	s_or_b32 s25, s25, exec_lo
	s_or_b32 s24, s24, exec_lo
                                        ; implicit-def: $vgpr9
	s_wait_xcnt 0x0
	s_and_saveexec_b32 s27, vcc_lo
	s_cbranch_execz .LBB2_178
; %bb.180:                              ;   in Loop: Header=BB2_179 Depth=2
	s_cmp_lt_i32 s26, 0x270f
	s_mov_b32 s28, -1
	s_cselect_b32 s40, -1, 0
	s_cmp_gt_i32 s26, 0x270e
	s_cbranch_scc0 .LBB2_182
; %bb.181:                              ;   in Loop: Header=BB2_179 Depth=2
	s_trap 2
	ds_load_b64 v[66:67], v0
	s_and_not1_b32 s26, s40, exec_lo
	s_mov_b32 s29, 0
	s_wait_storecnt 0x0
	s_wait_loadcnt_dscnt 0x0
	flat_load_b32 v9, v[66:67] scope:SCOPE_SYS
	s_wait_loadcnt_dscnt 0x0
	global_inv scope:SCOPE_SYS
	v_cmp_eq_u32_e64 s10, 0, v9
	s_and_b32 s10, s10, exec_lo
	s_delay_alu instid0(SALU_CYCLE_1)
	s_or_b32 s40, s26, s10
	s_mov_b32 s26, 0
	s_and_saveexec_b32 s41, s40
	s_cbranch_execz .LBB2_177
	s_branch .LBB2_176
.LBB2_182:                              ;   in Loop: Header=BB2_179 Depth=2
	s_add_co_i32 s26, s26, 1
	s_mov_b32 s29, -1
                                        ; implicit-def: $vgpr9
	s_and_saveexec_b32 s41, s40
	s_cbranch_execz .LBB2_177
	s_branch .LBB2_176
.LBB2_183:                              ;   in Loop: Header=BB2_49 Depth=1
	s_or_b32 exec_lo, exec_lo, s22
	s_xor_b32 s10, s23, -1
	s_delay_alu instid0(SALU_CYCLE_1) | instskip(NEXT) | instid1(SALU_CYCLE_1)
	s_and_saveexec_b32 s22, s10
	s_xor_b32 s10, exec_lo, s22
	s_cbranch_execz .LBB2_185
; %bb.184:                              ;   in Loop: Header=BB2_49 Depth=1
	v_or_b32_e32 v30, 64, v30
	s_wait_storecnt 0x0
	s_wait_loadcnt_dscnt 0x0
	ds_store_b32 v0, v9
	s_trap 2
.LBB2_185:                              ;   in Loop: Header=BB2_49 Depth=1
	s_or_b32 exec_lo, exec_lo, s10
.LBB2_186:                              ;   in Loop: Header=BB2_49 Depth=1
	s_delay_alu instid0(SALU_CYCLE_1) | instskip(SKIP_2) | instid1(VALU_DEP_1)
	s_or_b32 exec_lo, exec_lo, s21
	v_and_b32_e32 v9, 0x108, v30
	;;#ASMSTART
	s_wakeup
	;;#ASMEND
	v_cmp_ne_u32_e32 vcc_lo, 0x108, v9
	v_and_b32_e32 v8, 7, v8
	s_and_saveexec_b32 s10, vcc_lo
	s_delay_alu instid0(SALU_CYCLE_1)
	s_xor_b32 s10, exec_lo, s10
; %bb.187:                              ;   in Loop: Header=BB2_49 Depth=1
	v_mov_b32_e32 v9, v33
; %bb.188:                              ;   in Loop: Header=BB2_49 Depth=1
	s_and_not1_saveexec_b32 s10, s10
	s_cbranch_execz .LBB2_190
; %bb.189:                              ;   in Loop: Header=BB2_49 Depth=1
	v_dual_ashrrev_i32 v55, 31, v54 :: v_dual_mov_b32 v9, v33
	v_mad_nc_u64_u32 v[66:67], v8, 24, v[6:7]
	s_delay_alu instid0(VALU_DEP_2)
	v_lshlrev_b64_e32 v[68:69], 3, v[54:55]
	flat_store_b64 v[66:67], v[68:69] offset:8
.LBB2_190:                              ;   in Loop: Header=BB2_49 Depth=1
	s_wait_xcnt 0x0
	s_or_b32 exec_lo, exec_lo, s10
	v_and_b32_e32 v55, 0x100, v30
	s_mov_b32 s10, -1
	s_mov_b32 s21, exec_lo
                                        ; implicit-def: $vgpr66_vgpr67
	s_delay_alu instid0(VALU_DEP_1)
	v_cmpx_ne_u32_e32 0, v55
	s_cbranch_execz .LBB2_194
; %bb.191:                              ;   in Loop: Header=BB2_49 Depth=1
	v_mad_nc_u64_u32 v[68:69], v8, 24, v[6:7]
	s_mov_b32 s22, exec_lo
                                        ; implicit-def: $vgpr66_vgpr67
	s_delay_alu instid0(VALU_DEP_1)
	v_mad_u32 v69, v9, 24, v69
	flat_load_b32 v55, v[68:69]
	s_wait_loadcnt_dscnt 0x0
	v_cmp_ne_u32_e32 vcc_lo, 1, v55
	s_wait_xcnt 0x0
	v_cmpx_eq_u32_e32 1, v55
	s_cbranch_execz .LBB2_193
; %bb.192:                              ;   in Loop: Header=BB2_49 Depth=1
	flat_load_b32 v66, v[68:69] offset:4 scope:SCOPE_SYS
	s_wait_loadcnt_dscnt 0x0
	v_ashrrev_i32_e32 v67, 31, v66
	s_delay_alu instid0(VALU_DEP_1)
	v_lshrrev_b64 v[66:67], 3, v[66:67]
.LBB2_193:                              ;   in Loop: Header=BB2_49 Depth=1
	s_wait_xcnt 0x0
	s_or_b32 exec_lo, exec_lo, s22
	s_delay_alu instid0(SALU_CYCLE_1)
	s_or_not1_b32 s10, vcc_lo, exec_lo
.LBB2_194:                              ;   in Loop: Header=BB2_49 Depth=1
	s_or_b32 exec_lo, exec_lo, s21
	s_and_saveexec_b32 s21, s10
; %bb.195:                              ;   in Loop: Header=BB2_49 Depth=1
	v_mul_u64_e32 v[66:67], v[8:9], v[20:21]
; %bb.196:                              ;   in Loop: Header=BB2_49 Depth=1
	s_or_b32 exec_lo, exec_lo, s21
	v_cmp_eq_u32_e32 vcc_lo, 0, v32
	v_and_b32_e32 v55, 0x2000, v30
	s_delay_alu instid0(VALU_DEP_3) | instskip(SKIP_2) | instid1(VALU_DEP_1)
	v_lshl_add_u64 v[8:9], v[66:67], 3, v[22:23]
	s_mov_b32 s10, exec_lo
	v_cndmask_b32_e32 v32, 0xc8, v86, vcc_lo
	v_add_nc_u32_e32 v32, v0, v32
	ds_store_b64 v32, v[8:9] offset:584
	v_cmpx_ne_u32_e32 0, v55
	s_cbranch_execz .LBB2_198
; %bb.197:                              ;   in Loop: Header=BB2_49 Depth=1
	ds_load_b64 v[8:9], v0 offset:872
	s_wait_dscnt 0x0
	v_add_nc_u64_e32 v[8:9], 1, v[8:9]
	ds_store_b64 v0, v[8:9] offset:872
.LBB2_198:                              ;   in Loop: Header=BB2_49 Depth=1
	s_or_b32 exec_lo, exec_lo, s10
	v_mov_b64_e32 v[8:9], v[64:65]
.LBB2_199:                              ;   in Loop: Header=BB2_49 Depth=1
	s_or_b32 exec_lo, exec_lo, s19
	s_and_saveexec_b32 s10, s2
	s_cbranch_execz .LBB2_218
; %bb.200:                              ;   in Loop: Header=BB2_49 Depth=1
	s_and_saveexec_b32 s19, s3
	s_delay_alu instid0(SALU_CYCLE_1)
	s_xor_b32 s19, exec_lo, s19
	s_cbranch_execz .LBB2_215
; %bb.201:                              ;   in Loop: Header=BB2_49 Depth=1
	s_and_saveexec_b32 s21, s4
	s_cbranch_execz .LBB2_214
; %bb.202:                              ;   in Loop: Header=BB2_49 Depth=1
	s_mov_b32 s23, exec_lo
	s_mov_b32 s22, exec_lo
	v_mbcnt_lo_u32_b32 v32, s23, 0
	global_wb scope:SCOPE_DEV
	s_wait_storecnt 0x0
	s_wait_loadcnt_dscnt 0x0
	global_inv scope:SCOPE_DEV
	v_cmpx_eq_u32_e32 0, v32
	s_cbranch_execz .LBB2_204
; %bb.203:                              ;   in Loop: Header=BB2_49 Depth=1
	s_bcnt1_i32_b32 s23, s23
	s_delay_alu instid0(SALU_CYCLE_1)
	v_mov_b32_e32 v32, s23
	s_wait_loadcnt 0x0
	ds_add_u64 v0, v[32:33]
	s_trap 2
.LBB2_204:                              ;   in Loop: Header=BB2_49 Depth=1
	s_or_b32 exec_lo, exec_lo, s22
	s_trap 2
	ds_load_b64 v[64:65], v0
	s_wait_dscnt 0x0
	v_add_nc_u64_e32 v[10:11], v[10:11], v[28:29]
	s_mov_b32 s22, exec_lo
	s_delay_alu instid0(VALU_DEP_1)
	v_cmpx_lt_u64_e64 v[64:65], v[10:11]
	s_cbranch_execz .LBB2_213
; %bb.205:                              ;   in Loop: Header=BB2_49 Depth=1
	s_mov_b32 s23, 0
	s_mov_b32 s26, 0
                                        ; implicit-def: $sgpr24
                                        ; implicit-def: $sgpr25
	s_branch .LBB2_207
.LBB2_206:                              ;   in Loop: Header=BB2_207 Depth=2
	s_or_b32 exec_lo, exec_lo, s28
	s_delay_alu instid0(SALU_CYCLE_1) | instskip(NEXT) | instid1(SALU_CYCLE_1)
	s_and_b32 s27, exec_lo, s29
	s_or_b32 s23, s27, s23
	s_and_not1_b32 s24, s24, exec_lo
	s_and_b32 s27, s25, exec_lo
	s_delay_alu instid0(SALU_CYCLE_1)
	s_or_b32 s24, s24, s27
	s_and_not1_b32 exec_lo, exec_lo, s23
	s_cbranch_execz .LBB2_211
.LBB2_207:                              ;   Parent Loop BB2_49 Depth=1
                                        ; =>  This Inner Loop Header: Depth=2
	s_add_co_i32 s26, s26, 1
	s_delay_alu instid0(SALU_CYCLE_1) | instskip(SKIP_1) | instid1(SALU_CYCLE_1)
	s_cmp_lg_u32 s26, 0x2710
	s_cselect_b32 s27, -1, 0
	s_and_b32 vcc_lo, exec_lo, s27
	s_cbranch_vccz .LBB2_209
; %bb.208:                              ;   in Loop: Header=BB2_207 Depth=2
	s_mov_b32 s29, -1
	s_or_b32 s25, s25, exec_lo
	s_and_saveexec_b32 s28, s27
	s_cbranch_execz .LBB2_206
	s_branch .LBB2_210
.LBB2_209:                              ;   in Loop: Header=BB2_207 Depth=2
	s_trap 2
	ds_load_b64 v[64:65], v0
	s_and_not1_b32 s27, s27, exec_lo
	s_mov_b32 s26, 0
	s_wait_loadcnt_dscnt 0x0
	flat_load_b32 v32, v[64:65] scope:SCOPE_SYS
	s_wait_loadcnt_dscnt 0x0
	global_inv scope:SCOPE_SYS
	v_cmp_eq_u32_e32 vcc_lo, 0, v32
	s_and_b32 s28, vcc_lo, exec_lo
	s_delay_alu instid0(SALU_CYCLE_1)
	s_or_b32 s27, s27, s28
	s_mov_b32 s29, -1
	s_or_b32 s25, s25, exec_lo
	s_and_saveexec_b32 s28, s27
	s_cbranch_execz .LBB2_206
.LBB2_210:                              ;   in Loop: Header=BB2_207 Depth=2
	s_sleep 1
	s_trap 2
	ds_load_b64 v[64:65], v0
	s_wait_dscnt 0x0
	s_and_not1_b32 s25, s25, exec_lo
	v_cmp_ge_u64_e32 vcc_lo, v[64:65], v[10:11]
	s_or_not1_b32 s29, vcc_lo, exec_lo
	s_branch .LBB2_206
.LBB2_211:                              ;   in Loop: Header=BB2_49 Depth=1
	s_or_b32 exec_lo, exec_lo, s23
	s_and_saveexec_b32 s23, s24
	s_delay_alu instid0(SALU_CYCLE_1)
	s_xor_b32 s23, exec_lo, s23
	s_cbranch_execz .LBB2_213
; %bb.212:                              ;   in Loop: Header=BB2_49 Depth=1
	ds_store_b32 v0, v85
	s_trap 2
.LBB2_213:                              ;   in Loop: Header=BB2_49 Depth=1
	s_or_b32 exec_lo, exec_lo, s22
	;;#ASMSTART
	s_wakeup
	;;#ASMEND
.LBB2_214:                              ;   in Loop: Header=BB2_49 Depth=1
	s_or_b32 exec_lo, exec_lo, s21
.LBB2_215:                              ;   in Loop: Header=BB2_49 Depth=1
	s_and_not1_saveexec_b32 s19, s19
	s_cbranch_execz .LBB2_217
; %bb.216:                              ;   in Loop: Header=BB2_49 Depth=1
	global_wb scope:SCOPE_DEV
	s_wait_storecnt 0x0
	s_wait_loadcnt_dscnt 0x0
	global_inv scope:SCOPE_DEV
	s_barrier_signal -1
	s_barrier_wait -1
.LBB2_217:                              ;   in Loop: Header=BB2_49 Depth=1
	s_or_b32 exec_lo, exec_lo, s19
.LBB2_218:                              ;   in Loop: Header=BB2_49 Depth=1
	s_delay_alu instid0(SALU_CYCLE_1)
	s_or_b32 exec_lo, exec_lo, s10
	s_trap 2
	ds_load_b32 v32, v0
	v_cmp_lt_i32_e32 vcc_lo, 0, v54
	s_wait_dscnt 0x0
	v_readfirstlane_b32 s10, v32
	v_and_b32_e32 v32, 16, v30
	s_cmp_eq_u32 s10, 0
	s_delay_alu instid0(VALU_DEP_1) | instskip(SKIP_1) | instid1(SALU_CYCLE_1)
	v_cmp_ne_u32_e64 s10, 0, v32
	s_cselect_b32 s19, -1, 0
	s_and_b32 s19, vcc_lo, s19
	s_delay_alu instid0(SALU_CYCLE_1) | instskip(NEXT) | instid1(SALU_CYCLE_1)
	s_and_b32 s19, s10, s19
	s_and_saveexec_b32 s10, s19
	s_cbranch_execz .LBB2_220
; %bb.219:                              ;   in Loop: Header=BB2_49 Depth=1
	global_wb scope:SCOPE_SYS
	s_wait_loadcnt 0x0
	s_wait_storecnt 0x0
	global_inv scope:SCOPE_SYS
.LBB2_220:                              ;   in Loop: Header=BB2_49 Depth=1
	s_or_b32 exec_lo, exec_lo, s10
	v_cmp_ne_u32_e32 vcc_lo, 0, v32
	s_xor_b32 s10, s7, -1
	s_delay_alu instid0(SALU_CYCLE_1) | instskip(NEXT) | instid1(SALU_CYCLE_1)
	s_and_b32 s19, vcc_lo, s10
	s_and_saveexec_b32 s10, s19
	s_cbranch_execz .LBB2_222
; %bb.221:                              ;   in Loop: Header=BB2_49 Depth=1
	global_wb scope:SCOPE_SYS
	s_wait_loadcnt 0x0
	s_wait_storecnt 0x0
	flat_store_b32 v[26:27], v85 scope:SCOPE_SYS
.LBB2_222:                              ;   in Loop: Header=BB2_49 Depth=1
	s_wait_xcnt 0x0
	s_or_b32 exec_lo, exec_lo, s10
	v_and_b32_e32 v32, 48, v30
	s_mov_b32 s10, exec_lo
	s_delay_alu instid0(VALU_DEP_1)
	v_cmpx_ne_u32_e32 0, v32
	s_cbranch_execz .LBB2_47
; %bb.223:                              ;   in Loop: Header=BB2_49 Depth=1
	v_add_nc_u64_e32 v[8:9], 1, v[8:9]
	global_wb scope:SCOPE_SYS
	s_wait_storecnt 0x0
	s_wait_loadcnt_dscnt 0x0
	flat_store_b64 v[18:19], v[8:9] scope:SCOPE_SYS
	s_branch .LBB2_47
.LBB2_224:
	s_or_b32 exec_lo, exec_lo, s16
.LBB2_225:
	s_delay_alu instid0(SALU_CYCLE_1)
	s_or_b32 exec_lo, exec_lo, s15
                                        ; implicit-def: $vgpr14_vgpr15
                                        ; implicit-def: $vgpr4_vgpr5
                                        ; implicit-def: $vgpr20
                                        ; implicit-def: $vgpr24_vgpr25
                                        ; implicit-def: $vgpr22_vgpr23
                                        ; implicit-def: $vgpr18_vgpr19
                                        ; implicit-def: $vgpr0
                                        ; implicit-def: $vgpr49
                                        ; implicit-def: $vgpr12_vgpr13
.LBB2_226:
	s_and_not1_saveexec_b32 s10, s14
	s_cbranch_execz .LBB2_396
; %bb.227:
	v_mov_b64_e32 v[10:11], 0
	s_mov_b32 s14, exec_lo
	v_cmpx_ne_u64_e32 0, v[4:5]
	s_cbranch_execz .LBB2_395
; %bb.228:
	v_dual_ashrrev_i32 v10, 31, v0 :: v_dual_bitop2_b32 v11, 31, v31 bitop3:0x40
	v_dual_ashrrev_i32 v21, 31, v20 :: v_dual_mov_b32 v29, 0
	s_delay_alu instid0(VALU_DEP_2)
	v_dual_lshlrev_b32 v32, 4, v0 :: v_dual_lshrrev_b32 v10, 27, v10
	v_lshlrev_b32_e32 v28, 3, v1
	s_lshr_b32 s4, s12, 27
	v_cmp_eq_u32_e32 vcc_lo, 32, v1
	s_add_co_i32 s7, s12, s4
	s_wait_dscnt 0x1
	v_dual_add_nc_u32 v10, v0, v10 :: v_dual_lshrrev_b32 v26, 5, v1
	v_cmp_eq_u32_e64 s4, 0, v11
	v_cmp_ge_i32_e64 s1, v0, v1
	v_cmp_ne_u32_e64 s2, 32, v1
	s_delay_alu instid0(VALU_DEP_4) | instskip(SKIP_3) | instid1(VALU_DEP_4)
	v_and_b32_e32 v33, 0xffffffe0, v10
	v_ashrrev_i32_e32 v10, 5, v10
	v_cmp_ne_u32_e64 s3, v1, v82
	v_dual_mov_b32 v27, v29 :: v_dual_lshlrev_b32 v36, 8, v26
	v_dual_mov_b32 v37, v29 :: v_dual_sub_nc_u32 v70, v0, v33
	s_wait_dscnt 0x0
	v_dual_mov_b32 v35, v29 :: v_dual_sub_nc_u32 v71, 0, v10
	v_mov_b64_e32 v[10:11], 0
	v_dual_ashrrev_i32 v33, 31, v32 :: v_dual_lshlrev_b32 v34, 9, v26
	v_cmp_le_i32_e64 s5, v70, v49
	v_mov_b64_e32 v[48:49], 0
	v_cmp_gt_i32_e64 s6, 1, v70
	v_and_b32_e32 v38, 0xff00, v28
	v_dual_mov_b32 v39, v29 :: v_dual_mov_b32 v80, 1
	s_ashr_i32 s16, s7, 5
	s_mov_b32 s15, 0
	s_xor_b32 s17, vcc_lo, -1
	s_trap 2
	s_branch .LBB2_231
.LBB2_229:                              ;   in Loop: Header=BB2_231 Depth=1
	s_wait_xcnt 0x0
	s_or_b32 exec_lo, exec_lo, s7
.LBB2_230:                              ;   in Loop: Header=BB2_231 Depth=1
	s_delay_alu instid0(SALU_CYCLE_1) | instskip(SKIP_1) | instid1(VALU_DEP_1)
	s_or_b32 exec_lo, exec_lo, s19
	v_add_nc_u64_e32 v[48:49], v[48:49], v[12:13]
	v_cmp_ge_u64_e32 vcc_lo, v[48:49], v[4:5]
	s_or_b32 s15, vcc_lo, s15
	s_delay_alu instid0(SALU_CYCLE_1)
	s_and_not1_b32 exec_lo, exec_lo, s15
	s_cbranch_execz .LBB2_394
.LBB2_231:                              ; =>This Loop Header: Depth=1
                                        ;     Child Loop BB2_240 Depth 2
                                        ;     Child Loop BB2_264 Depth 2
	;; [unrolled: 1-line block ×10, first 2 shown]
	v_sub_nc_u64_e32 v[50:51], v[4:5], v[48:49]
	v_mov_b32_e32 v64, 0
	s_delay_alu instid0(VALU_DEP_2) | instskip(NEXT) | instid1(VALU_DEP_1)
	v_min_u64 v[50:51], v[12:13], v[50:51]
	v_add_nc_u32_e32 v28, 15, v50
	s_delay_alu instid0(VALU_DEP_2) | instskip(NEXT) | instid1(VALU_DEP_2)
	v_cmp_eq_u64_e32 vcc_lo, 0, v[50:51]
	v_and_b32_e32 v28, 0xffffff0, v28
	s_or_b32 s18, s1, vcc_lo
	s_delay_alu instid0(SALU_CYCLE_1) | instskip(NEXT) | instid1(VALU_DEP_1)
	s_xor_b32 s7, s18, -1
	v_max_i32_e32 v51, s16, v28
	s_and_saveexec_b32 s19, s7
	s_cbranch_execz .LBB2_348
; %bb.232:                              ;   in Loop: Header=BB2_231 Depth=1
	s_and_saveexec_b32 s7, s0
	s_cbranch_execz .LBB2_234
; %bb.233:                              ;   in Loop: Header=BB2_231 Depth=1
	s_trap 2
	ds_load_b64 v[64:65], v0
	ds_load_2addr_b64 v[52:55], v0 offset1:1
	v_add_nc_u64_e32 v[66:67], v[48:49], v[14:15]
	s_delay_alu instid0(VALU_DEP_1) | instskip(SKIP_1) | instid1(VALU_DEP_1)
	v_lshlrev_b64_e32 v[66:67], 3, v[66:67]
	s_wait_dscnt 0x1
	v_add_nc_u64_e32 v[68:69], v[64:65], v[66:67]
	v_cmp_ne_u64_e32 vcc_lo, 0, v[64:65]
	s_wait_dscnt 0x0
	v_add_nc_u64_e32 v[52:53], v[52:53], v[66:67]
	v_add_nc_u64_e32 v[54:55], v[54:55], v[66:67]
	s_delay_alu instid0(VALU_DEP_4)
	v_dual_cndmask_b32 v65, 0, v69 :: v_dual_cndmask_b32 v64, 0, v68
	ds_store_b64 v0, v[52:53]
	ds_store_b64 v0, v[54:55]
	;; [unrolled: 1-line block ×3, first 2 shown]
.LBB2_234:                              ;   in Loop: Header=BB2_231 Depth=1
	s_or_b32 exec_lo, exec_lo, s7
	v_and_b32_e32 v28, 4, v30
	s_mov_b32 s20, exec_lo
	s_delay_alu instid0(VALU_DEP_1)
	v_cmpx_ne_u32_e32 0, v28
	s_cbranch_execz .LBB2_256
; %bb.235:                              ;   in Loop: Header=BB2_231 Depth=1
	v_add_nc_u64_e32 v[52:53], 1, v[8:9]
	s_mov_b32 s21, exec_lo
	s_wait_loadcnt 0x0
	s_delay_alu instid0(VALU_DEP_1)
	v_cmpx_lt_u64_e64 v[24:25], v[52:53]
	s_cbranch_execz .LBB2_247
; %bb.236:                              ;   in Loop: Header=BB2_231 Depth=1
	v_and_b32_e32 v9, 64, v30
	s_mov_b32 s22, 0
	s_mov_b32 s26, 0
                                        ; implicit-def: $sgpr23
                                        ; implicit-def: $sgpr24
                                        ; implicit-def: $sgpr25
	s_delay_alu instid0(VALU_DEP_1)
	v_cmp_eq_u32_e32 vcc_lo, 0, v9
	s_branch .LBB2_240
.LBB2_237:                              ;   in Loop: Header=BB2_240 Depth=2
	s_wait_loadcnt_dscnt 0x0
	v_cmp_ge_u64_e64 s7, v[24:25], v[52:53]
	s_or_b32 s29, s29, exec_lo
	s_or_not1_b32 s28, s7, exec_lo
.LBB2_238:                              ;   in Loop: Header=BB2_240 Depth=2
	s_or_b32 exec_lo, exec_lo, s41
	s_delay_alu instid0(SALU_CYCLE_1)
	s_and_not1_b32 s7, s25, exec_lo
	s_and_b32 s25, s29, exec_lo
	s_and_not1_b32 s24, s24, exec_lo
	s_and_b32 s28, s28, exec_lo
	s_or_b32 s25, s7, s25
	s_or_b32 s24, s24, s28
.LBB2_239:                              ;   in Loop: Header=BB2_240 Depth=2
	s_or_b32 exec_lo, exec_lo, s27
	s_delay_alu instid0(SALU_CYCLE_1) | instskip(NEXT) | instid1(SALU_CYCLE_1)
	s_and_b32 s7, exec_lo, s24
	s_or_b32 s22, s7, s22
	s_and_not1_b32 s7, s23, exec_lo
	s_and_b32 s23, s25, exec_lo
	s_delay_alu instid0(SALU_CYCLE_1)
	s_or_b32 s23, s7, s23
	s_and_not1_b32 exec_lo, exec_lo, s22
	s_cbranch_execz .LBB2_244
.LBB2_240:                              ;   Parent Loop BB2_231 Depth=1
                                        ; =>  This Inner Loop Header: Depth=2
	s_sleep 1
	s_wait_loadcnt_dscnt 0x0
	flat_load_b64 v[24:25], v[18:19] scope:SCOPE_SYS
	s_or_b32 s25, s25, exec_lo
	s_or_b32 s24, s24, exec_lo
                                        ; implicit-def: $vgpr9
	s_wait_xcnt 0x0
	s_and_saveexec_b32 s27, vcc_lo
	s_cbranch_execz .LBB2_239
; %bb.241:                              ;   in Loop: Header=BB2_240 Depth=2
	s_cmp_lt_i32 s26, 0x270f
	s_mov_b32 s28, -1
	s_cselect_b32 s40, -1, 0
	s_cmp_gt_i32 s26, 0x270e
	s_cbranch_scc0 .LBB2_243
; %bb.242:                              ;   in Loop: Header=BB2_240 Depth=2
	s_trap 2
	ds_load_b64 v[54:55], v0
	s_and_not1_b32 s26, s40, exec_lo
	s_mov_b32 s29, 0
	s_wait_storecnt 0x0
	s_wait_loadcnt_dscnt 0x0
	flat_load_b32 v9, v[54:55] scope:SCOPE_SYS
	s_wait_loadcnt_dscnt 0x0
	global_inv scope:SCOPE_SYS
	v_cmp_eq_u32_e64 s7, 0, v9
	s_and_b32 s7, s7, exec_lo
	s_delay_alu instid0(SALU_CYCLE_1)
	s_or_b32 s40, s26, s7
	s_mov_b32 s26, 0
	s_and_saveexec_b32 s41, s40
	s_cbranch_execz .LBB2_238
	s_branch .LBB2_237
.LBB2_243:                              ;   in Loop: Header=BB2_240 Depth=2
	s_add_co_i32 s26, s26, 1
	s_mov_b32 s29, -1
                                        ; implicit-def: $vgpr9
	s_and_saveexec_b32 s41, s40
	s_cbranch_execz .LBB2_238
	s_branch .LBB2_237
.LBB2_244:                              ;   in Loop: Header=BB2_231 Depth=1
	s_or_b32 exec_lo, exec_lo, s22
	s_xor_b32 s7, s23, -1
	s_delay_alu instid0(SALU_CYCLE_1) | instskip(NEXT) | instid1(SALU_CYCLE_1)
	s_and_saveexec_b32 s22, s7
	s_xor_b32 s7, exec_lo, s22
	s_cbranch_execz .LBB2_246
; %bb.245:                              ;   in Loop: Header=BB2_231 Depth=1
	v_or_b32_e32 v30, 64, v30
	s_wait_storecnt 0x0
	s_wait_loadcnt_dscnt 0x0
	ds_store_b32 v0, v9
	s_trap 2
.LBB2_246:                              ;   in Loop: Header=BB2_231 Depth=1
	s_or_b32 exec_lo, exec_lo, s7
.LBB2_247:                              ;   in Loop: Header=BB2_231 Depth=1
	s_delay_alu instid0(SALU_CYCLE_1) | instskip(SKIP_4) | instid1(VALU_DEP_2)
	s_or_b32 exec_lo, exec_lo, s21
	v_and_b32_e32 v9, 0x100, v30
	v_and_b32_e32 v28, 7, v8
	s_mov_b32 s7, -1
	;;#ASMSTART
	s_wakeup
	;;#ASMEND
	v_cmp_ne_u32_e32 vcc_lo, 0, v9
                                        ; implicit-def: $vgpr8_vgpr9
	s_and_saveexec_b32 s21, vcc_lo
	s_cbranch_execz .LBB2_251
; %bb.248:                              ;   in Loop: Header=BB2_231 Depth=1
	v_mad_nc_u64_u32 v[54:55], v28, 24, v[6:7]
	flat_load_b32 v8, v[54:55]
	s_wait_loadcnt_dscnt 0x0
	v_cmp_eq_u32_e64 s7, 1, v8
	v_cmp_ne_u32_e32 vcc_lo, 1, v8
                                        ; implicit-def: $vgpr8_vgpr9
	s_wait_xcnt 0x0
	s_and_saveexec_b32 s22, s7
	s_cbranch_execz .LBB2_250
; %bb.249:                              ;   in Loop: Header=BB2_231 Depth=1
	flat_load_b32 v8, v[54:55] offset:4 scope:SCOPE_SYS
	s_wait_loadcnt_dscnt 0x0
	v_ashrrev_i32_e32 v9, 31, v8
	s_delay_alu instid0(VALU_DEP_1)
	v_lshrrev_b64 v[8:9], 3, v[8:9]
.LBB2_250:                              ;   in Loop: Header=BB2_231 Depth=1
	s_wait_xcnt 0x0
	s_or_b32 exec_lo, exec_lo, s22
	s_delay_alu instid0(SALU_CYCLE_1)
	s_or_not1_b32 s7, vcc_lo, exec_lo
.LBB2_251:                              ;   in Loop: Header=BB2_231 Depth=1
	s_or_b32 exec_lo, exec_lo, s21
	s_and_saveexec_b32 s21, s7
; %bb.252:                              ;   in Loop: Header=BB2_231 Depth=1
	v_mul_u64_e32 v[8:9], v[28:29], v[20:21]
; %bb.253:                              ;   in Loop: Header=BB2_231 Depth=1
	s_or_b32 exec_lo, exec_lo, s21
	v_and_b32_e32 v28, 0x2000, v30
	s_delay_alu instid0(VALU_DEP_2)
	v_lshl_add_u64 v[8:9], v[8:9], 3, v[22:23]
	s_mov_b32 s7, exec_lo
	ds_store_b64 v0, v[8:9] offset:728
	v_cmpx_ne_u32_e32 0, v28
	s_cbranch_execz .LBB2_255
; %bb.254:                              ;   in Loop: Header=BB2_231 Depth=1
	ds_load_b64 v[8:9], v0 offset:872
	s_wait_dscnt 0x0
	v_add_nc_u64_e32 v[8:9], 1, v[8:9]
	ds_store_b64 v0, v[8:9] offset:872
.LBB2_255:                              ;   in Loop: Header=BB2_231 Depth=1
	s_or_b32 exec_lo, exec_lo, s7
	v_mov_b64_e32 v[8:9], v[52:53]
.LBB2_256:                              ;   in Loop: Header=BB2_231 Depth=1
	s_or_b32 exec_lo, exec_lo, s20
	s_and_saveexec_b32 s7, s2
	s_cbranch_execz .LBB2_275
; %bb.257:                              ;   in Loop: Header=BB2_231 Depth=1
	s_and_saveexec_b32 s20, s3
	s_delay_alu instid0(SALU_CYCLE_1)
	s_xor_b32 s20, exec_lo, s20
	s_cbranch_execz .LBB2_272
; %bb.258:                              ;   in Loop: Header=BB2_231 Depth=1
	s_and_saveexec_b32 s21, s4
	s_cbranch_execz .LBB2_271
; %bb.259:                              ;   in Loop: Header=BB2_231 Depth=1
	s_mov_b32 s23, exec_lo
	s_mov_b32 s22, exec_lo
	v_mbcnt_lo_u32_b32 v28, s23, 0
	global_wb scope:SCOPE_DEV
	s_wait_storecnt 0x0
	s_wait_loadcnt_dscnt 0x0
	global_inv scope:SCOPE_DEV
	v_cmpx_eq_u32_e32 0, v28
	s_cbranch_execz .LBB2_261
; %bb.260:                              ;   in Loop: Header=BB2_231 Depth=1
	s_bcnt1_i32_b32 s23, s23
	s_delay_alu instid0(SALU_CYCLE_1)
	v_mov_b32_e32 v28, s23
	s_wait_loadcnt 0x0
	ds_add_u64 v0, v[28:29]
	s_trap 2
.LBB2_261:                              ;   in Loop: Header=BB2_231 Depth=1
	s_or_b32 exec_lo, exec_lo, s22
	s_trap 2
	ds_load_b64 v[52:53], v0
	s_wait_dscnt 0x0
	v_add_nc_u64_e32 v[10:11], v[10:11], v[26:27]
	s_mov_b32 s22, exec_lo
	s_delay_alu instid0(VALU_DEP_1)
	v_cmpx_lt_u64_e64 v[52:53], v[10:11]
	s_cbranch_execz .LBB2_270
; %bb.262:                              ;   in Loop: Header=BB2_231 Depth=1
	s_mov_b32 s23, 0
	s_mov_b32 s26, 0
                                        ; implicit-def: $sgpr24
                                        ; implicit-def: $sgpr25
	s_branch .LBB2_264
.LBB2_263:                              ;   in Loop: Header=BB2_264 Depth=2
	s_or_b32 exec_lo, exec_lo, s28
	s_delay_alu instid0(SALU_CYCLE_1) | instskip(NEXT) | instid1(SALU_CYCLE_1)
	s_and_b32 s27, exec_lo, s29
	s_or_b32 s23, s27, s23
	s_and_not1_b32 s24, s24, exec_lo
	s_and_b32 s27, s25, exec_lo
	s_delay_alu instid0(SALU_CYCLE_1)
	s_or_b32 s24, s24, s27
	s_and_not1_b32 exec_lo, exec_lo, s23
	s_cbranch_execz .LBB2_268
.LBB2_264:                              ;   Parent Loop BB2_231 Depth=1
                                        ; =>  This Inner Loop Header: Depth=2
	s_add_co_i32 s26, s26, 1
	s_delay_alu instid0(SALU_CYCLE_1) | instskip(SKIP_1) | instid1(SALU_CYCLE_1)
	s_cmp_lg_u32 s26, 0x2710
	s_cselect_b32 s27, -1, 0
	s_and_b32 vcc_lo, exec_lo, s27
	s_cbranch_vccz .LBB2_266
; %bb.265:                              ;   in Loop: Header=BB2_264 Depth=2
	s_mov_b32 s29, -1
	s_or_b32 s25, s25, exec_lo
	s_and_saveexec_b32 s28, s27
	s_cbranch_execz .LBB2_263
	s_branch .LBB2_267
.LBB2_266:                              ;   in Loop: Header=BB2_264 Depth=2
	s_trap 2
	ds_load_b64 v[52:53], v0
	s_and_not1_b32 s27, s27, exec_lo
	s_mov_b32 s26, 0
	s_wait_loadcnt_dscnt 0x0
	flat_load_b32 v28, v[52:53] scope:SCOPE_SYS
	s_wait_loadcnt_dscnt 0x0
	global_inv scope:SCOPE_SYS
	v_cmp_eq_u32_e32 vcc_lo, 0, v28
	s_and_b32 s28, vcc_lo, exec_lo
	s_delay_alu instid0(SALU_CYCLE_1)
	s_or_b32 s27, s27, s28
	s_mov_b32 s29, -1
	s_or_b32 s25, s25, exec_lo
	s_and_saveexec_b32 s28, s27
	s_cbranch_execz .LBB2_263
.LBB2_267:                              ;   in Loop: Header=BB2_264 Depth=2
	s_sleep 1
	s_trap 2
	ds_load_b64 v[52:53], v0
	s_wait_dscnt 0x0
	s_and_not1_b32 s25, s25, exec_lo
	v_cmp_ge_u64_e32 vcc_lo, v[52:53], v[10:11]
	s_or_not1_b32 s29, vcc_lo, exec_lo
	s_branch .LBB2_263
.LBB2_268:                              ;   in Loop: Header=BB2_231 Depth=1
	s_or_b32 exec_lo, exec_lo, s23
	s_and_saveexec_b32 s23, s24
	s_delay_alu instid0(SALU_CYCLE_1)
	s_xor_b32 s23, exec_lo, s23
	s_cbranch_execz .LBB2_270
; %bb.269:                              ;   in Loop: Header=BB2_231 Depth=1
	ds_store_b32 v0, v80
	s_trap 2
.LBB2_270:                              ;   in Loop: Header=BB2_231 Depth=1
	s_or_b32 exec_lo, exec_lo, s22
	;;#ASMSTART
	s_wakeup
	;;#ASMEND
.LBB2_271:                              ;   in Loop: Header=BB2_231 Depth=1
	s_or_b32 exec_lo, exec_lo, s21
.LBB2_272:                              ;   in Loop: Header=BB2_231 Depth=1
	s_and_not1_saveexec_b32 s20, s20
	s_cbranch_execz .LBB2_274
; %bb.273:                              ;   in Loop: Header=BB2_231 Depth=1
	global_wb scope:SCOPE_DEV
	s_wait_storecnt 0x0
	s_wait_loadcnt_dscnt 0x0
	global_inv scope:SCOPE_DEV
	s_barrier_signal -1
	s_barrier_wait -1
.LBB2_274:                              ;   in Loop: Header=BB2_231 Depth=1
	s_or_b32 exec_lo, exec_lo, s20
.LBB2_275:                              ;   in Loop: Header=BB2_231 Depth=1
	s_delay_alu instid0(SALU_CYCLE_1) | instskip(SKIP_3) | instid1(VALU_DEP_1)
	s_or_b32 exec_lo, exec_lo, s7
	s_trap 2
	ds_load_b32 v64, v0
	v_and_b32_e32 v28, 0x4000, v30
	v_cmp_ne_u32_e32 vcc_lo, 0, v28
	s_and_b32 s20, s17, vcc_lo
	s_delay_alu instid0(SALU_CYCLE_1)
	s_and_saveexec_b32 s7, s20
	s_cbranch_execz .LBB2_294
; %bb.276:                              ;   in Loop: Header=BB2_231 Depth=1
	s_and_saveexec_b32 s20, s3
	s_delay_alu instid0(SALU_CYCLE_1)
	s_xor_b32 s20, exec_lo, s20
	s_cbranch_execz .LBB2_291
; %bb.277:                              ;   in Loop: Header=BB2_231 Depth=1
	s_and_saveexec_b32 s21, s4
	s_cbranch_execz .LBB2_290
; %bb.278:                              ;   in Loop: Header=BB2_231 Depth=1
	s_mov_b32 s23, exec_lo
	s_mov_b32 s22, exec_lo
	v_mbcnt_lo_u32_b32 v28, s23, 0
	global_wb scope:SCOPE_DEV
	s_wait_storecnt 0x0
	s_wait_loadcnt_dscnt 0x0
	global_inv scope:SCOPE_DEV
	v_cmpx_eq_u32_e32 0, v28
	s_cbranch_execz .LBB2_280
; %bb.279:                              ;   in Loop: Header=BB2_231 Depth=1
	s_bcnt1_i32_b32 s23, s23
	s_delay_alu instid0(SALU_CYCLE_1)
	v_mov_b32_e32 v28, s23
	s_wait_loadcnt 0x0
	ds_add_u64 v0, v[28:29]
	s_trap 2
.LBB2_280:                              ;   in Loop: Header=BB2_231 Depth=1
	s_or_b32 exec_lo, exec_lo, s22
	s_trap 2
	ds_load_b64 v[52:53], v0
	s_wait_dscnt 0x0
	v_add_nc_u64_e32 v[10:11], v[10:11], v[26:27]
	s_mov_b32 s22, exec_lo
	s_delay_alu instid0(VALU_DEP_1)
	v_cmpx_lt_u64_e64 v[52:53], v[10:11]
	s_cbranch_execz .LBB2_289
; %bb.281:                              ;   in Loop: Header=BB2_231 Depth=1
	s_mov_b32 s23, 0
	s_mov_b32 s26, 0
                                        ; implicit-def: $sgpr24
                                        ; implicit-def: $sgpr25
	s_branch .LBB2_283
.LBB2_282:                              ;   in Loop: Header=BB2_283 Depth=2
	s_or_b32 exec_lo, exec_lo, s28
	s_delay_alu instid0(SALU_CYCLE_1) | instskip(NEXT) | instid1(SALU_CYCLE_1)
	s_and_b32 s27, exec_lo, s29
	s_or_b32 s23, s27, s23
	s_and_not1_b32 s24, s24, exec_lo
	s_and_b32 s27, s25, exec_lo
	s_delay_alu instid0(SALU_CYCLE_1)
	s_or_b32 s24, s24, s27
	s_and_not1_b32 exec_lo, exec_lo, s23
	s_cbranch_execz .LBB2_287
.LBB2_283:                              ;   Parent Loop BB2_231 Depth=1
                                        ; =>  This Inner Loop Header: Depth=2
	s_add_co_i32 s26, s26, 1
	s_delay_alu instid0(SALU_CYCLE_1) | instskip(SKIP_1) | instid1(SALU_CYCLE_1)
	s_cmp_lg_u32 s26, 0x2710
	s_cselect_b32 s27, -1, 0
	s_and_b32 vcc_lo, exec_lo, s27
	s_cbranch_vccz .LBB2_285
; %bb.284:                              ;   in Loop: Header=BB2_283 Depth=2
	s_mov_b32 s29, -1
	s_or_b32 s25, s25, exec_lo
	s_and_saveexec_b32 s28, s27
	s_cbranch_execz .LBB2_282
	s_branch .LBB2_286
.LBB2_285:                              ;   in Loop: Header=BB2_283 Depth=2
	s_trap 2
	ds_load_b64 v[52:53], v0
	s_and_not1_b32 s27, s27, exec_lo
	s_mov_b32 s26, 0
	s_wait_loadcnt_dscnt 0x0
	flat_load_b32 v28, v[52:53] scope:SCOPE_SYS
	s_wait_loadcnt_dscnt 0x0
	global_inv scope:SCOPE_SYS
	v_cmp_eq_u32_e32 vcc_lo, 0, v28
	s_and_b32 s28, vcc_lo, exec_lo
	s_delay_alu instid0(SALU_CYCLE_1)
	s_or_b32 s27, s27, s28
	s_mov_b32 s29, -1
	s_or_b32 s25, s25, exec_lo
	s_and_saveexec_b32 s28, s27
	s_cbranch_execz .LBB2_282
.LBB2_286:                              ;   in Loop: Header=BB2_283 Depth=2
	s_sleep 1
	s_trap 2
	ds_load_b64 v[52:53], v0
	s_wait_dscnt 0x0
	s_and_not1_b32 s25, s25, exec_lo
	v_cmp_ge_u64_e32 vcc_lo, v[52:53], v[10:11]
	s_or_not1_b32 s29, vcc_lo, exec_lo
	s_branch .LBB2_282
.LBB2_287:                              ;   in Loop: Header=BB2_231 Depth=1
	s_or_b32 exec_lo, exec_lo, s23
	s_and_saveexec_b32 s23, s24
	s_delay_alu instid0(SALU_CYCLE_1)
	s_xor_b32 s23, exec_lo, s23
	s_cbranch_execz .LBB2_289
; %bb.288:                              ;   in Loop: Header=BB2_231 Depth=1
	ds_store_b32 v0, v80
	s_trap 2
.LBB2_289:                              ;   in Loop: Header=BB2_231 Depth=1
	s_or_b32 exec_lo, exec_lo, s22
	;;#ASMSTART
	s_wakeup
	;;#ASMEND
.LBB2_290:                              ;   in Loop: Header=BB2_231 Depth=1
	s_or_b32 exec_lo, exec_lo, s21
.LBB2_291:                              ;   in Loop: Header=BB2_231 Depth=1
	s_and_not1_saveexec_b32 s20, s20
	s_cbranch_execz .LBB2_293
; %bb.292:                              ;   in Loop: Header=BB2_231 Depth=1
	global_wb scope:SCOPE_DEV
	s_wait_storecnt 0x0
	s_wait_loadcnt_dscnt 0x0
	global_inv scope:SCOPE_DEV
	s_barrier_signal -1
	s_barrier_wait -1
.LBB2_293:                              ;   in Loop: Header=BB2_231 Depth=1
	s_or_b32 exec_lo, exec_lo, s20
.LBB2_294:                              ;   in Loop: Header=BB2_231 Depth=1
	s_delay_alu instid0(SALU_CYCLE_1)
	s_or_b32 exec_lo, exec_lo, s7
	s_trap 2
	ds_load_b64 v[52:53], v0
	v_min_u32_e32 v51, v51, v50
	s_wait_dscnt 0x0
	v_cmp_eq_u64_e32 vcc_lo, 0, v[52:53]
	s_cbranch_vccnz .LBB2_302
; %bb.295:                              ;   in Loop: Header=BB2_231 Depth=1
	s_trap 2
	ds_load_b64 v[54:55], v0
	s_wait_dscnt 0x0
	v_cmp_eq_u64_e32 vcc_lo, 0, v[54:55]
	s_cbranch_vccnz .LBB2_302
; %bb.296:                              ;   in Loop: Header=BB2_231 Depth=1
	s_mov_b32 s7, -1
	s_and_saveexec_b32 s20, s5
	s_cbranch_execz .LBB2_298
; %bb.297:                              ;   in Loop: Header=BB2_231 Depth=1
	ds_load_b32 v28, v0 offset:720
	s_wait_dscnt 0x0
	v_and_b32_e32 v28, 15, v28
	s_delay_alu instid0(VALU_DEP_1)
	v_cmp_eq_u32_e32 vcc_lo, 0, v28
	s_or_not1_b32 s7, vcc_lo, exec_lo
.LBB2_298:                              ;   in Loop: Header=BB2_231 Depth=1
	s_or_b32 exec_lo, exec_lo, s20
	s_and_saveexec_b32 s20, s6
	s_cbranch_execz .LBB2_300
; %bb.299:                              ;   in Loop: Header=BB2_231 Depth=1
	ds_load_b32 v28, v0 offset:784
	s_wait_dscnt 0x0
	v_and_b32_e32 v28, 15, v28
	s_delay_alu instid0(VALU_DEP_1) | instskip(SKIP_3) | instid1(SALU_CYCLE_1)
	v_cmp_eq_u32_e32 vcc_lo, 0, v28
	s_and_b32 s21, s7, vcc_lo
	s_and_not1_b32 s7, s7, exec_lo
	s_and_b32 s21, s21, exec_lo
	s_or_b32 s7, s7, s21
.LBB2_300:                              ;   in Loop: Header=BB2_231 Depth=1
	s_or_b32 exec_lo, exec_lo, s20
	v_cmp_eq_u32_e32 vcc_lo, 0, v64
	s_xor_b32 s7, s7, -1
	s_mov_b32 s21, -1
	v_cndmask_b32_e64 v65, 0, 1, s7
	v_dual_mov_b32 v83, 0 :: v_dual_cndmask_b32 v28, 0, v51
	s_delay_alu instid0(VALU_DEP_2) | instskip(NEXT) | instid1(VALU_DEP_2)
	v_cmp_ne_u32_e32 vcc_lo, 0, v65
	v_lshlrev_b32_e32 v81, 3, v28
	s_cbranch_vccz .LBB2_303
; %bb.301:                              ;   in Loop: Header=BB2_231 Depth=1
	v_dual_mov_b32 v64, v0 :: v_dual_mov_b32 v84, v70
	s_and_saveexec_b32 s20, s21
	s_cbranch_execnz .LBB2_316
	s_branch .LBB2_324
.LBB2_302:                              ;   in Loop: Header=BB2_231 Depth=1
	s_mov_b32 s7, 0
	s_and_saveexec_b32 s20, s2
	s_cbranch_execnz .LBB2_325
	s_branch .LBB2_343
.LBB2_303:                              ;   in Loop: Header=BB2_231 Depth=1
	v_lshrrev_b32_e32 v64, 6, v28
	s_delay_alu instid0(VALU_DEP_2) | instskip(SKIP_1) | instid1(VALU_DEP_2)
	v_sub_nc_u32_e32 v83, v81, v32
	s_mov_b32 s20, exec_lo
	v_lshlrev_b32_e32 v86, 9, v64
	s_delay_alu instid0(VALU_DEP_1) | instskip(NEXT) | instid1(VALU_DEP_1)
	v_sub_nc_u32_e32 v96, v81, v86
	v_cmp_lt_i32_e32 vcc_lo, 15, v96
	v_add_co_ci_u32_e64 v87, null, v64, v71, vcc_lo
	v_cmpx_lt_i32_e32 15, v83
	s_cbranch_execz .LBB2_307
; %bb.304:                              ;   in Loop: Header=BB2_231 Depth=1
	s_trap 2
	ds_load_b64 v[66:67], v0
	v_add_nc_u64_e32 v[64:65], v[52:53], v[32:33]
	v_add_nc_u64_e32 v[68:69], v[54:55], v[32:33]
	s_mov_b32 s21, 0
	s_wait_dscnt 0x0
	v_add_nc_u64_e32 v[66:67], v[66:67], v[32:33]
.LBB2_305:                              ;   Parent Loop BB2_231 Depth=1
                                        ; =>  This Inner Loop Header: Depth=2
	global_load_b128 v[98:101], v[64:65], off th:TH_LOAD_NT
	global_load_b128 v[112:115], v[66:67], off th:TH_LOAD_NT
	v_sub_nc_u32_e32 v83, v83, v34
	s_wait_xcnt 0x1
	v_add_nc_u64_e32 v[64:65], v[64:65], v[34:35]
	s_wait_xcnt 0x0
	v_add_nc_u64_e32 v[66:67], v[66:67], v[34:35]
	v_sub_nc_u32_e32 v87, v87, v26
	v_cmp_gt_i32_e64 s7, 16, v83
	s_or_b32 s21, s7, s21
	s_wait_loadcnt 0x0
	v_mul_u64_e32 v[98:99], v[112:113], v[98:99]
	v_mul_u64_e32 v[100:101], v[114:115], v[100:101]
	global_store_b128 v[68:69], v[98:101], off th:TH_STORE_NT
	s_wait_xcnt 0x0
	v_add_nc_u64_e32 v[68:69], v[68:69], v[34:35]
	s_and_not1_b32 exec_lo, exec_lo, s21
	s_cbranch_execnz .LBB2_305
; %bb.306:                              ;   in Loop: Header=BB2_231 Depth=1
	s_or_b32 exec_lo, exec_lo, s21
.LBB2_307:                              ;   in Loop: Header=BB2_231 Depth=1
	s_delay_alu instid0(SALU_CYCLE_1) | instskip(SKIP_3) | instid1(VALU_DEP_1)
	s_or_b32 exec_lo, exec_lo, s20
	v_dual_mov_b32 v83, 0 :: v_dual_bitop2_b32 v65, 8, v81 bitop3:0x40
	s_mov_b32 s21, 0
	s_mov_b32 s20, exec_lo
                                        ; implicit-def: $vgpr81
                                        ; implicit-def: $vgpr64
                                        ; implicit-def: $vgpr84
	v_cndmask_b32_e32 v85, v96, v65, vcc_lo
	s_delay_alu instid0(VALU_DEP_1)
	v_cmpx_ne_u32_e32 0, v85
	s_cbranch_execz .LBB2_315
; %bb.308:                              ;   in Loop: Header=BB2_231 Depth=1
	v_cmp_lt_i32_e64 s7, 0, v87
	s_mov_b32 s21, exec_lo
	v_dual_ashrrev_i32 v67, 31, v85 :: v_dual_cndmask_b32 v64, 0, v26, s7
	s_delay_alu instid0(VALU_DEP_1) | instskip(NEXT) | instid1(VALU_DEP_2)
	v_lshrrev_b32_e32 v67, 23, v67
	v_sub_nc_u32_e32 v64, v64, v87
	s_delay_alu instid0(VALU_DEP_2) | instskip(NEXT) | instid1(VALU_DEP_2)
	v_dual_add_nc_u32 v67, v85, v67 :: v_dual_sub_nc_u32 v65, v96, v65
	v_lshl_add_u32 v64, v64, 5, v70
	s_delay_alu instid0(VALU_DEP_2) | instskip(NEXT) | instid1(VALU_DEP_2)
	v_and_b32_e32 v87, 0xfffffe00, v67
	v_dual_ashrrev_i32 v67, 9, v67 :: v_dual_ashrrev_i32 v66, 31, v64
	s_delay_alu instid0(VALU_DEP_1) | instskip(NEXT) | instid1(VALU_DEP_1)
	v_dual_sub_nc_u32 v96, v85, v87 :: v_dual_lshrrev_b32 v66, 27, v66
	v_add_nc_u32_e32 v66, v64, v66
	s_delay_alu instid0(VALU_DEP_1) | instskip(NEXT) | instid1(VALU_DEP_1)
	v_and_b32_e32 v68, 0xffffffe0, v66
	v_dual_ashrrev_i32 v66, 5, v66 :: v_dual_sub_nc_u32 v97, v64, v68
	s_delay_alu instid0(VALU_DEP_1) | instskip(NEXT) | instid1(VALU_DEP_1)
	v_lshlrev_b32_e32 v64, 4, v97
	v_lshl_add_u32 v64, v66, 9, v64
	v_cndmask_b32_e32 v65, 0, v65, vcc_lo
	v_cmp_lt_i32_e32 vcc_lo, 15, v96
	s_delay_alu instid0(VALU_DEP_3) | instskip(NEXT) | instid1(VALU_DEP_3)
	v_sub_nc_u32_e32 v81, v85, v64
	v_add_nc_u32_e32 v86, v65, v86
	v_add_co_ci_u32_e64 v67, null, 0, v67, vcc_lo
	s_delay_alu instid0(VALU_DEP_1) | instskip(NEXT) | instid1(VALU_DEP_4)
	v_sub_nc_u32_e32 v98, v67, v66
	v_cmpx_lt_i32_e32 15, v81
	s_cbranch_execz .LBB2_312
; %bb.309:                              ;   in Loop: Header=BB2_231 Depth=1
	s_trap 2
	ds_load_b64 v[66:67], v0
	v_add_nc_u32_e32 v68, v64, v86
	s_mov_b32 s22, 0
	s_delay_alu instid0(VALU_DEP_1) | instskip(NEXT) | instid1(VALU_DEP_1)
	v_ashrrev_i32_e32 v69, 31, v68
	v_add_nc_u64_e32 v[64:65], v[68:69], v[52:53]
	s_wait_dscnt 0x0
	v_add_nc_u64_e32 v[66:67], v[66:67], v[68:69]
	v_add_nc_u64_e32 v[68:69], v[68:69], v[54:55]
.LBB2_310:                              ;   Parent Loop BB2_231 Depth=1
                                        ; =>  This Inner Loop Header: Depth=2
	global_load_b128 v[100:103], v[64:65], off th:TH_LOAD_NT
	global_load_b128 v[112:115], v[66:67], off th:TH_LOAD_NT
	v_sub_nc_u32_e32 v81, v81, v34
	s_wait_xcnt 0x1
	v_add_nc_u64_e32 v[64:65], v[64:65], v[34:35]
	s_wait_xcnt 0x0
	v_add_nc_u64_e32 v[66:67], v[66:67], v[34:35]
	v_sub_nc_u32_e32 v98, v98, v26
	v_cmp_gt_i32_e64 s7, 16, v81
	s_or_b32 s22, s7, s22
	s_wait_loadcnt 0x0
	v_mul_u64_e32 v[100:101], v[112:113], v[100:101]
	v_mul_u64_e32 v[102:103], v[114:115], v[102:103]
	global_store_b128 v[68:69], v[100:103], off th:TH_STORE_NT
	s_wait_xcnt 0x0
	v_add_nc_u64_e32 v[68:69], v[68:69], v[34:35]
	s_and_not1_b32 exec_lo, exec_lo, s22
	s_cbranch_execnz .LBB2_310
; %bb.311:                              ;   in Loop: Header=BB2_231 Depth=1
	s_or_b32 exec_lo, exec_lo, s22
.LBB2_312:                              ;   in Loop: Header=BB2_231 Depth=1
	s_delay_alu instid0(SALU_CYCLE_1) | instskip(SKIP_3) | instid1(VALU_DEP_1)
	s_or_b32 exec_lo, exec_lo, s21
	v_dual_mov_b32 v83, 0 :: v_dual_bitop2_b32 v65, 8, v85 bitop3:0x40
	s_mov_b32 s21, 0
	s_mov_b32 s22, exec_lo
                                        ; implicit-def: $vgpr64
                                        ; implicit-def: $vgpr84
	v_cndmask_b32_e32 v81, v96, v65, vcc_lo
	s_delay_alu instid0(VALU_DEP_1)
	v_cmpx_ne_u32_e32 0, v81
	s_cbranch_execz .LBB2_314
; %bb.313:                              ;   in Loop: Header=BB2_231 Depth=1
	v_cmp_lt_i32_e64 s7, 0, v98
	s_mov_b32 s21, exec_lo
	v_dual_sub_nc_u32 v65, v96, v65 :: v_dual_cndmask_b32 v64, 0, v26, s7
	s_delay_alu instid0(VALU_DEP_1) | instskip(NEXT) | instid1(VALU_DEP_1)
	v_dual_cndmask_b32 v65, 0, v65 :: v_dual_sub_nc_u32 v64, v64, v98
	v_add3_u32 v83, v87, v86, v65
	s_delay_alu instid0(VALU_DEP_2) | instskip(NEXT) | instid1(VALU_DEP_1)
	v_lshl_add_u32 v64, v64, 5, v97
	v_ashrrev_i32_e32 v66, 31, v64
	s_delay_alu instid0(VALU_DEP_1) | instskip(NEXT) | instid1(VALU_DEP_1)
	v_lshrrev_b32_e32 v66, 27, v66
	v_add_nc_u32_e32 v66, v64, v66
	s_delay_alu instid0(VALU_DEP_1) | instskip(NEXT) | instid1(VALU_DEP_1)
	v_and_b32_e32 v66, 0xffffffe0, v66
	v_sub_nc_u32_e32 v84, v64, v66
.LBB2_314:                              ;   in Loop: Header=BB2_231 Depth=1
	s_or_b32 exec_lo, exec_lo, s22
	s_delay_alu instid0(SALU_CYCLE_1)
	s_and_b32 s21, s21, exec_lo
.LBB2_315:                              ;   in Loop: Header=BB2_231 Depth=1
	s_or_b32 exec_lo, exec_lo, s20
	s_and_saveexec_b32 s20, s21
	s_cbranch_execz .LBB2_324
.LBB2_316:                              ;   in Loop: Header=BB2_231 Depth=1
	s_delay_alu instid0(VALU_DEP_1) | instskip(SKIP_1) | instid1(VALU_DEP_1)
	v_dual_ashrrev_i32 v65, 31, v64 :: v_dual_ashrrev_i32 v66, 31, v81
	s_mov_b32 s21, exec_lo
	v_dual_lshrrev_b32 v65, 27, v65 :: v_dual_lshrrev_b32 v66, 24, v66
	s_delay_alu instid0(VALU_DEP_1) | instskip(NEXT) | instid1(VALU_DEP_1)
	v_dual_add_nc_u32 v64, v64, v65 :: v_dual_add_nc_u32 v65, v81, v66
	v_ashrrev_i32_e32 v66, 5, v64
	s_delay_alu instid0(VALU_DEP_2) | instskip(SKIP_1) | instid1(VALU_DEP_2)
	v_and_b32_e32 v85, 0xffffff00, v65
	v_dual_lshlrev_b32 v64, 3, v84 :: v_dual_ashrrev_i32 v65, 8, v65
	v_sub_nc_u32_e32 v86, v81, v85
	s_delay_alu instid0(VALU_DEP_2) | instskip(NEXT) | instid1(VALU_DEP_3)
	v_lshl_add_u32 v64, v66, 8, v64
	v_sub_nc_u32_e32 v65, v65, v66
	s_delay_alu instid0(VALU_DEP_3) | instskip(NEXT) | instid1(VALU_DEP_3)
	v_cmp_lt_i32_e32 vcc_lo, 7, v86
	v_sub_nc_u32_e32 v96, v81, v64
	s_delay_alu instid0(VALU_DEP_3) | instskip(NEXT) | instid1(VALU_DEP_2)
	v_add_co_ci_u32_e64 v87, null, 0, v65, vcc_lo
	v_cmpx_lt_i32_e32 7, v96
	s_cbranch_execz .LBB2_320
; %bb.317:                              ;   in Loop: Header=BB2_231 Depth=1
	s_trap 2
	ds_load_b64 v[66:67], v0
	v_add_nc_u32_e32 v68, v64, v83
	s_mov_b32 s22, 0
	s_delay_alu instid0(VALU_DEP_1) | instskip(NEXT) | instid1(VALU_DEP_1)
	v_ashrrev_i32_e32 v69, 31, v68
	v_add_nc_u64_e32 v[64:65], v[68:69], v[52:53]
	s_wait_dscnt 0x0
	v_add_nc_u64_e32 v[66:67], v[66:67], v[68:69]
	v_add_nc_u64_e32 v[68:69], v[68:69], v[54:55]
.LBB2_318:                              ;   Parent Loop BB2_231 Depth=1
                                        ; =>  This Inner Loop Header: Depth=2
	flat_load_b64 v[98:99], v[64:65] th:TH_LOAD_NT
	flat_load_b64 v[100:101], v[66:67] th:TH_LOAD_NT
	v_dual_sub_nc_u32 v96, v96, v36 :: v_dual_sub_nc_u32 v87, v87, v26
	s_wait_xcnt 0x1
	v_add_nc_u64_e32 v[64:65], v[64:65], v[36:37]
	s_wait_xcnt 0x0
	v_add_nc_u64_e32 v[66:67], v[66:67], v[36:37]
	v_cmp_gt_i32_e64 s7, 8, v96
	s_or_b32 s22, s7, s22
	s_wait_loadcnt_dscnt 0x0
	v_mul_u64_e32 v[98:99], v[100:101], v[98:99]
	flat_store_b64 v[68:69], v[98:99] th:TH_STORE_NT
	s_wait_xcnt 0x0
	v_add_nc_u64_e32 v[68:69], v[68:69], v[36:37]
	s_and_not1_b32 exec_lo, exec_lo, s22
	s_cbranch_execnz .LBB2_318
; %bb.319:                              ;   in Loop: Header=BB2_231 Depth=1
	s_or_b32 exec_lo, exec_lo, s22
.LBB2_320:                              ;   in Loop: Header=BB2_231 Depth=1
	s_delay_alu instid0(SALU_CYCLE_1) | instskip(SKIP_1) | instid1(VALU_DEP_1)
	s_or_b32 exec_lo, exec_lo, s21
	v_and_b32_e32 v64, 7, v81
	v_cndmask_b32_e32 v66, v86, v64, vcc_lo
	s_delay_alu instid0(VALU_DEP_1)
	v_cmp_ne_u32_e64 s7, 0, v66
	s_and_b32 exec_lo, exec_lo, s7
	s_cbranch_execz .LBB2_324
; %bb.321:                              ;   in Loop: Header=BB2_231 Depth=1
	v_cmp_lt_i32_e64 s7, 0, v87
	s_delay_alu instid0(VALU_DEP_1) | instskip(NEXT) | instid1(VALU_DEP_1)
	v_cndmask_b32_e64 v65, 0, v26, s7
	v_sub_nc_u32_e32 v65, v65, v87
	s_delay_alu instid0(VALU_DEP_1) | instskip(NEXT) | instid1(VALU_DEP_1)
	v_lshl_add_u32 v65, v65, 5, v84
	v_ashrrev_i32_e32 v67, 31, v65
	s_delay_alu instid0(VALU_DEP_1) | instskip(NEXT) | instid1(VALU_DEP_1)
	v_lshrrev_b32_e32 v67, 27, v67
	v_add_nc_u32_e32 v67, v65, v67
	s_delay_alu instid0(VALU_DEP_1) | instskip(NEXT) | instid1(VALU_DEP_1)
	v_and_b32_e32 v68, 0x1fffffe0, v67
	v_dual_lshlrev_b32 v67, 3, v67 :: v_dual_sub_nc_u32 v65, v65, v68
	s_delay_alu instid0(VALU_DEP_1) | instskip(NEXT) | instid1(VALU_DEP_1)
	v_and_b32_e32 v67, 0xffffff00, v67
	v_lshl_add_u32 v65, v65, 3, v67
	s_delay_alu instid0(VALU_DEP_1) | instskip(NEXT) | instid1(VALU_DEP_1)
	v_sub_nc_u32_e32 v66, v66, v65
	v_cmp_lt_i32_e64 s7, 7, v66
	s_and_b32 exec_lo, exec_lo, s7
	s_cbranch_execz .LBB2_324
; %bb.322:                              ;   in Loop: Header=BB2_231 Depth=1
	v_dual_sub_nc_u32 v64, v86, v64 :: v_dual_add_nc_u32 v67, v85, v83
	s_trap 2
	ds_load_b64 v[68:69], v0
	s_mov_b32 s7, 0
	v_cndmask_b32_e32 v64, 0, v64, vcc_lo
	s_delay_alu instid0(VALU_DEP_1) | instskip(NEXT) | instid1(VALU_DEP_1)
	v_add3_u32 v84, v67, v64, v65
	v_ashrrev_i32_e32 v85, 31, v84
	s_delay_alu instid0(VALU_DEP_1)
	v_add_nc_u64_e32 v[52:53], v[84:85], v[52:53]
	v_add_nc_u64_e32 v[54:55], v[84:85], v[54:55]
	s_wait_dscnt 0x0
	v_add_nc_u64_e32 v[64:65], v[68:69], v[84:85]
.LBB2_323:                              ;   Parent Loop BB2_231 Depth=1
                                        ; =>  This Inner Loop Header: Depth=2
	flat_load_b64 v[68:69], v[52:53] th:TH_LOAD_NT
	flat_load_b64 v[84:85], v[64:65] th:TH_LOAD_NT
	v_sub_nc_u32_e32 v66, v66, v38
	s_wait_xcnt 0x1
	v_add_nc_u64_e32 v[52:53], v[52:53], v[38:39]
	s_wait_xcnt 0x0
	v_add_nc_u64_e32 v[64:65], v[64:65], v[38:39]
	v_cmp_gt_i32_e32 vcc_lo, 8, v66
	s_or_b32 s7, vcc_lo, s7
	s_wait_loadcnt_dscnt 0x0
	v_mul_u64_e32 v[68:69], v[84:85], v[68:69]
	flat_store_b64 v[54:55], v[68:69] th:TH_STORE_NT
	s_wait_xcnt 0x0
	v_add_nc_u64_e32 v[54:55], v[54:55], v[38:39]
	s_and_not1_b32 exec_lo, exec_lo, s7
	s_cbranch_execnz .LBB2_323
.LBB2_324:                              ;   in Loop: Header=BB2_231 Depth=1
	s_or_b32 exec_lo, exec_lo, s20
	v_cmp_ne_u32_e64 s7, 0, v28
	s_and_saveexec_b32 s20, s2
	s_cbranch_execz .LBB2_343
.LBB2_325:                              ;   in Loop: Header=BB2_231 Depth=1
	s_and_saveexec_b32 s21, s3
	s_delay_alu instid0(SALU_CYCLE_1)
	s_xor_b32 s21, exec_lo, s21
	s_cbranch_execz .LBB2_340
; %bb.326:                              ;   in Loop: Header=BB2_231 Depth=1
	s_and_saveexec_b32 s22, s4
	s_cbranch_execz .LBB2_339
; %bb.327:                              ;   in Loop: Header=BB2_231 Depth=1
	s_mov_b32 s24, exec_lo
	s_mov_b32 s23, exec_lo
	v_mbcnt_lo_u32_b32 v28, s24, 0
	global_wb scope:SCOPE_DEV
	s_wait_storecnt 0x0
	s_wait_loadcnt_dscnt 0x0
	global_inv scope:SCOPE_DEV
	v_cmpx_eq_u32_e32 0, v28
	s_cbranch_execz .LBB2_329
; %bb.328:                              ;   in Loop: Header=BB2_231 Depth=1
	s_bcnt1_i32_b32 s24, s24
	s_delay_alu instid0(SALU_CYCLE_1)
	v_mov_b32_e32 v28, s24
	s_wait_loadcnt 0x0
	ds_add_u64 v0, v[28:29]
	s_trap 2
.LBB2_329:                              ;   in Loop: Header=BB2_231 Depth=1
	s_or_b32 exec_lo, exec_lo, s23
	s_trap 2
	ds_load_b64 v[52:53], v0
	s_wait_dscnt 0x0
	v_add_nc_u64_e32 v[10:11], v[10:11], v[26:27]
	s_mov_b32 s23, exec_lo
	s_delay_alu instid0(VALU_DEP_1)
	v_cmpx_lt_u64_e64 v[52:53], v[10:11]
	s_cbranch_execz .LBB2_338
; %bb.330:                              ;   in Loop: Header=BB2_231 Depth=1
	s_mov_b32 s24, 0
	s_mov_b32 s27, 0
                                        ; implicit-def: $sgpr25
                                        ; implicit-def: $sgpr26
	s_branch .LBB2_332
.LBB2_331:                              ;   in Loop: Header=BB2_332 Depth=2
	s_or_b32 exec_lo, exec_lo, s29
	s_delay_alu instid0(SALU_CYCLE_1) | instskip(NEXT) | instid1(SALU_CYCLE_1)
	s_and_b32 s28, exec_lo, s40
	s_or_b32 s24, s28, s24
	s_and_not1_b32 s25, s25, exec_lo
	s_and_b32 s28, s26, exec_lo
	s_delay_alu instid0(SALU_CYCLE_1)
	s_or_b32 s25, s25, s28
	s_and_not1_b32 exec_lo, exec_lo, s24
	s_cbranch_execz .LBB2_336
.LBB2_332:                              ;   Parent Loop BB2_231 Depth=1
                                        ; =>  This Inner Loop Header: Depth=2
	s_add_co_i32 s27, s27, 1
	s_delay_alu instid0(SALU_CYCLE_1) | instskip(SKIP_1) | instid1(SALU_CYCLE_1)
	s_cmp_lg_u32 s27, 0x2710
	s_cselect_b32 s28, -1, 0
	s_and_b32 vcc_lo, exec_lo, s28
	s_cbranch_vccz .LBB2_334
; %bb.333:                              ;   in Loop: Header=BB2_332 Depth=2
	s_mov_b32 s40, -1
	s_or_b32 s26, s26, exec_lo
	s_and_saveexec_b32 s29, s28
	s_cbranch_execz .LBB2_331
	s_branch .LBB2_335
.LBB2_334:                              ;   in Loop: Header=BB2_332 Depth=2
	s_trap 2
	ds_load_b64 v[52:53], v0
	s_and_not1_b32 s28, s28, exec_lo
	s_mov_b32 s27, 0
	s_wait_loadcnt_dscnt 0x0
	flat_load_b32 v28, v[52:53] scope:SCOPE_SYS
	s_wait_loadcnt_dscnt 0x0
	global_inv scope:SCOPE_SYS
	v_cmp_eq_u32_e32 vcc_lo, 0, v28
	s_and_b32 s29, vcc_lo, exec_lo
	s_delay_alu instid0(SALU_CYCLE_1)
	s_or_b32 s28, s28, s29
	s_mov_b32 s40, -1
	s_or_b32 s26, s26, exec_lo
	s_and_saveexec_b32 s29, s28
	s_cbranch_execz .LBB2_331
.LBB2_335:                              ;   in Loop: Header=BB2_332 Depth=2
	s_sleep 1
	s_trap 2
	ds_load_b64 v[52:53], v0
	s_wait_dscnt 0x0
	s_and_not1_b32 s26, s26, exec_lo
	v_cmp_ge_u64_e32 vcc_lo, v[52:53], v[10:11]
	s_or_not1_b32 s40, vcc_lo, exec_lo
	s_branch .LBB2_331
.LBB2_336:                              ;   in Loop: Header=BB2_231 Depth=1
	s_or_b32 exec_lo, exec_lo, s24
	s_and_saveexec_b32 s24, s25
	s_delay_alu instid0(SALU_CYCLE_1)
	s_xor_b32 s24, exec_lo, s24
	s_cbranch_execz .LBB2_338
; %bb.337:                              ;   in Loop: Header=BB2_231 Depth=1
	ds_store_b32 v0, v80
	s_trap 2
.LBB2_338:                              ;   in Loop: Header=BB2_231 Depth=1
	s_or_b32 exec_lo, exec_lo, s23
	;;#ASMSTART
	s_wakeup
	;;#ASMEND
.LBB2_339:                              ;   in Loop: Header=BB2_231 Depth=1
	s_or_b32 exec_lo, exec_lo, s22
.LBB2_340:                              ;   in Loop: Header=BB2_231 Depth=1
	s_and_not1_saveexec_b32 s21, s21
	s_cbranch_execz .LBB2_342
; %bb.341:                              ;   in Loop: Header=BB2_231 Depth=1
	global_wb scope:SCOPE_DEV
	s_wait_storecnt 0x0
	s_wait_loadcnt_dscnt 0x0
	global_inv scope:SCOPE_DEV
	s_barrier_signal -1
	s_barrier_wait -1
.LBB2_342:                              ;   in Loop: Header=BB2_231 Depth=1
	s_or_b32 exec_lo, exec_lo, s21
.LBB2_343:                              ;   in Loop: Header=BB2_231 Depth=1
	s_delay_alu instid0(SALU_CYCLE_1) | instskip(SKIP_1) | instid1(VALU_DEP_1)
	s_or_b32 exec_lo, exec_lo, s20
	v_and_b32_e32 v28, 16, v30
	v_cmp_ne_u32_e32 vcc_lo, 0, v28
	s_and_b32 s20, vcc_lo, s7
	s_delay_alu instid0(SALU_CYCLE_1)
	s_and_saveexec_b32 s7, s20
	s_cbranch_execz .LBB2_345
; %bb.344:                              ;   in Loop: Header=BB2_231 Depth=1
	global_wb scope:SCOPE_SYS
	s_wait_storecnt 0x0
	s_wait_loadcnt_dscnt 0x0
	global_inv scope:SCOPE_SYS
.LBB2_345:                              ;   in Loop: Header=BB2_231 Depth=1
	s_or_b32 exec_lo, exec_lo, s7
	v_and_b32_e32 v28, 32, v30
	s_mov_b32 s7, exec_lo
	s_delay_alu instid0(VALU_DEP_1)
	v_cmpx_ne_u32_e32 0, v28
	s_cbranch_execz .LBB2_347
; %bb.346:                              ;   in Loop: Header=BB2_231 Depth=1
	v_add_nc_u64_e32 v[8:9], 1, v[8:9]
	global_wb scope:SCOPE_SYS
	s_wait_storecnt 0x0
	s_wait_loadcnt_dscnt 0x0
	flat_store_b64 v[18:19], v[8:9] scope:SCOPE_SYS
.LBB2_347:                              ;   in Loop: Header=BB2_231 Depth=1
	s_wait_xcnt 0x0
	s_or_b32 exec_lo, exec_lo, s7
	v_mov_b32_e32 v64, v51
.LBB2_348:                              ;   in Loop: Header=BB2_231 Depth=1
	s_or_b32 exec_lo, exec_lo, s19
	s_and_saveexec_b32 s19, s18
	s_cbranch_execz .LBB2_230
; %bb.349:                              ;   in Loop: Header=BB2_231 Depth=1
	v_and_b32_e32 v28, 4, v30
	s_mov_b32 s18, exec_lo
	s_delay_alu instid0(VALU_DEP_1)
	v_cmpx_ne_u32_e32 0, v28
	s_cbranch_execz .LBB2_371
; %bb.350:                              ;   in Loop: Header=BB2_231 Depth=1
	v_add_nc_u64_e32 v[52:53], 1, v[8:9]
	s_mov_b32 s20, exec_lo
	s_wait_loadcnt 0x0
	s_delay_alu instid0(VALU_DEP_1)
	v_cmpx_lt_u64_e64 v[24:25], v[52:53]
	s_cbranch_execz .LBB2_362
; %bb.351:                              ;   in Loop: Header=BB2_231 Depth=1
	v_and_b32_e32 v9, 64, v30
	s_mov_b32 s21, 0
	s_mov_b32 s25, 0
                                        ; implicit-def: $sgpr22
                                        ; implicit-def: $sgpr23
                                        ; implicit-def: $sgpr24
	s_delay_alu instid0(VALU_DEP_1)
	v_cmp_eq_u32_e32 vcc_lo, 0, v9
	s_branch .LBB2_355
.LBB2_352:                              ;   in Loop: Header=BB2_355 Depth=2
	s_wait_loadcnt_dscnt 0x0
	v_cmp_ge_u64_e64 s7, v[24:25], v[52:53]
	s_or_b32 s28, s28, exec_lo
	s_or_not1_b32 s27, s7, exec_lo
.LBB2_353:                              ;   in Loop: Header=BB2_355 Depth=2
	s_or_b32 exec_lo, exec_lo, s40
	s_delay_alu instid0(SALU_CYCLE_1)
	s_and_not1_b32 s7, s24, exec_lo
	s_and_b32 s24, s28, exec_lo
	s_and_not1_b32 s23, s23, exec_lo
	s_and_b32 s27, s27, exec_lo
	s_or_b32 s24, s7, s24
	s_or_b32 s23, s23, s27
.LBB2_354:                              ;   in Loop: Header=BB2_355 Depth=2
	s_or_b32 exec_lo, exec_lo, s26
	s_delay_alu instid0(SALU_CYCLE_1) | instskip(NEXT) | instid1(SALU_CYCLE_1)
	s_and_b32 s7, exec_lo, s23
	s_or_b32 s21, s7, s21
	s_and_not1_b32 s7, s22, exec_lo
	s_and_b32 s22, s24, exec_lo
	s_delay_alu instid0(SALU_CYCLE_1)
	s_or_b32 s22, s7, s22
	s_and_not1_b32 exec_lo, exec_lo, s21
	s_cbranch_execz .LBB2_359
.LBB2_355:                              ;   Parent Loop BB2_231 Depth=1
                                        ; =>  This Inner Loop Header: Depth=2
	s_sleep 1
	s_wait_loadcnt_dscnt 0x0
	flat_load_b64 v[24:25], v[18:19] scope:SCOPE_SYS
	s_or_b32 s24, s24, exec_lo
	s_or_b32 s23, s23, exec_lo
                                        ; implicit-def: $vgpr9
	s_wait_xcnt 0x0
	s_and_saveexec_b32 s26, vcc_lo
	s_cbranch_execz .LBB2_354
; %bb.356:                              ;   in Loop: Header=BB2_355 Depth=2
	s_cmp_lt_i32 s25, 0x270f
	s_mov_b32 s27, -1
	s_cselect_b32 s29, -1, 0
	s_cmp_gt_i32 s25, 0x270e
	s_cbranch_scc0 .LBB2_358
; %bb.357:                              ;   in Loop: Header=BB2_355 Depth=2
	s_trap 2
	ds_load_b64 v[54:55], v0
	s_and_not1_b32 s25, s29, exec_lo
	s_mov_b32 s28, 0
	s_wait_storecnt 0x0
	s_wait_loadcnt_dscnt 0x0
	flat_load_b32 v9, v[54:55] scope:SCOPE_SYS
	s_wait_loadcnt_dscnt 0x0
	global_inv scope:SCOPE_SYS
	v_cmp_eq_u32_e64 s7, 0, v9
	s_and_b32 s7, s7, exec_lo
	s_delay_alu instid0(SALU_CYCLE_1)
	s_or_b32 s29, s25, s7
	s_mov_b32 s25, 0
	s_and_saveexec_b32 s40, s29
	s_cbranch_execz .LBB2_353
	s_branch .LBB2_352
.LBB2_358:                              ;   in Loop: Header=BB2_355 Depth=2
	s_add_co_i32 s25, s25, 1
	s_mov_b32 s28, -1
                                        ; implicit-def: $vgpr9
	s_and_saveexec_b32 s40, s29
	s_cbranch_execz .LBB2_353
	s_branch .LBB2_352
.LBB2_359:                              ;   in Loop: Header=BB2_231 Depth=1
	s_or_b32 exec_lo, exec_lo, s21
	s_xor_b32 s7, s22, -1
	s_delay_alu instid0(SALU_CYCLE_1) | instskip(NEXT) | instid1(SALU_CYCLE_1)
	s_and_saveexec_b32 s21, s7
	s_xor_b32 s7, exec_lo, s21
	s_cbranch_execz .LBB2_361
; %bb.360:                              ;   in Loop: Header=BB2_231 Depth=1
	v_or_b32_e32 v30, 64, v30
	s_wait_storecnt 0x0
	s_wait_loadcnt_dscnt 0x0
	ds_store_b32 v0, v9
	s_trap 2
.LBB2_361:                              ;   in Loop: Header=BB2_231 Depth=1
	s_or_b32 exec_lo, exec_lo, s7
.LBB2_362:                              ;   in Loop: Header=BB2_231 Depth=1
	s_delay_alu instid0(SALU_CYCLE_1) | instskip(SKIP_4) | instid1(VALU_DEP_2)
	s_or_b32 exec_lo, exec_lo, s20
	v_and_b32_e32 v9, 0x100, v30
	v_and_b32_e32 v28, 7, v8
	s_mov_b32 s7, -1
	;;#ASMSTART
	s_wakeup
	;;#ASMEND
	v_cmp_ne_u32_e32 vcc_lo, 0, v9
                                        ; implicit-def: $vgpr8_vgpr9
	s_and_saveexec_b32 s20, vcc_lo
	s_cbranch_execz .LBB2_366
; %bb.363:                              ;   in Loop: Header=BB2_231 Depth=1
	v_mad_nc_u64_u32 v[54:55], v28, 24, v[6:7]
	flat_load_b32 v8, v[54:55]
	s_wait_loadcnt_dscnt 0x0
	v_cmp_eq_u32_e64 s7, 1, v8
	v_cmp_ne_u32_e32 vcc_lo, 1, v8
                                        ; implicit-def: $vgpr8_vgpr9
	s_wait_xcnt 0x0
	s_and_saveexec_b32 s21, s7
	s_cbranch_execz .LBB2_365
; %bb.364:                              ;   in Loop: Header=BB2_231 Depth=1
	flat_load_b32 v8, v[54:55] offset:4 scope:SCOPE_SYS
	s_wait_loadcnt_dscnt 0x0
	v_ashrrev_i32_e32 v9, 31, v8
	s_delay_alu instid0(VALU_DEP_1)
	v_lshrrev_b64 v[8:9], 3, v[8:9]
.LBB2_365:                              ;   in Loop: Header=BB2_231 Depth=1
	s_wait_xcnt 0x0
	s_or_b32 exec_lo, exec_lo, s21
	s_delay_alu instid0(SALU_CYCLE_1)
	s_or_not1_b32 s7, vcc_lo, exec_lo
.LBB2_366:                              ;   in Loop: Header=BB2_231 Depth=1
	s_or_b32 exec_lo, exec_lo, s20
	s_and_saveexec_b32 s20, s7
; %bb.367:                              ;   in Loop: Header=BB2_231 Depth=1
	v_mul_u64_e32 v[8:9], v[28:29], v[20:21]
; %bb.368:                              ;   in Loop: Header=BB2_231 Depth=1
	s_or_b32 exec_lo, exec_lo, s20
	v_and_b32_e32 v28, 0x2000, v30
	s_delay_alu instid0(VALU_DEP_2)
	v_lshl_add_u64 v[8:9], v[8:9], 3, v[22:23]
	s_mov_b32 s7, exec_lo
	ds_store_b64 v0, v[8:9] offset:728
	v_cmpx_ne_u32_e32 0, v28
	s_cbranch_execz .LBB2_370
; %bb.369:                              ;   in Loop: Header=BB2_231 Depth=1
	ds_load_b64 v[8:9], v0 offset:872
	s_wait_dscnt 0x0
	v_add_nc_u64_e32 v[8:9], 1, v[8:9]
	ds_store_b64 v0, v[8:9] offset:872
.LBB2_370:                              ;   in Loop: Header=BB2_231 Depth=1
	s_or_b32 exec_lo, exec_lo, s7
	v_mov_b64_e32 v[8:9], v[52:53]
.LBB2_371:                              ;   in Loop: Header=BB2_231 Depth=1
	s_or_b32 exec_lo, exec_lo, s18
	s_and_saveexec_b32 s7, s2
	s_cbranch_execz .LBB2_390
; %bb.372:                              ;   in Loop: Header=BB2_231 Depth=1
	s_and_saveexec_b32 s18, s3
	s_delay_alu instid0(SALU_CYCLE_1)
	s_xor_b32 s18, exec_lo, s18
	s_cbranch_execz .LBB2_387
; %bb.373:                              ;   in Loop: Header=BB2_231 Depth=1
	s_and_saveexec_b32 s20, s4
	s_cbranch_execz .LBB2_386
; %bb.374:                              ;   in Loop: Header=BB2_231 Depth=1
	s_mov_b32 s22, exec_lo
	s_mov_b32 s21, exec_lo
	v_mbcnt_lo_u32_b32 v28, s22, 0
	global_wb scope:SCOPE_DEV
	s_wait_storecnt 0x0
	s_wait_loadcnt_dscnt 0x0
	global_inv scope:SCOPE_DEV
	v_cmpx_eq_u32_e32 0, v28
	s_cbranch_execz .LBB2_376
; %bb.375:                              ;   in Loop: Header=BB2_231 Depth=1
	s_bcnt1_i32_b32 s22, s22
	s_delay_alu instid0(SALU_CYCLE_1)
	v_mov_b32_e32 v28, s22
	s_wait_loadcnt 0x0
	ds_add_u64 v0, v[28:29]
	s_trap 2
.LBB2_376:                              ;   in Loop: Header=BB2_231 Depth=1
	s_or_b32 exec_lo, exec_lo, s21
	s_trap 2
	ds_load_b64 v[52:53], v0
	s_wait_dscnt 0x0
	v_add_nc_u64_e32 v[10:11], v[10:11], v[26:27]
	s_mov_b32 s21, exec_lo
	s_delay_alu instid0(VALU_DEP_1)
	v_cmpx_lt_u64_e64 v[52:53], v[10:11]
	s_cbranch_execz .LBB2_385
; %bb.377:                              ;   in Loop: Header=BB2_231 Depth=1
	s_mov_b32 s22, 0
	s_mov_b32 s25, 0
                                        ; implicit-def: $sgpr23
                                        ; implicit-def: $sgpr24
	s_branch .LBB2_379
.LBB2_378:                              ;   in Loop: Header=BB2_379 Depth=2
	s_or_b32 exec_lo, exec_lo, s27
	s_delay_alu instid0(SALU_CYCLE_1) | instskip(NEXT) | instid1(SALU_CYCLE_1)
	s_and_b32 s26, exec_lo, s28
	s_or_b32 s22, s26, s22
	s_and_not1_b32 s23, s23, exec_lo
	s_and_b32 s26, s24, exec_lo
	s_delay_alu instid0(SALU_CYCLE_1)
	s_or_b32 s23, s23, s26
	s_and_not1_b32 exec_lo, exec_lo, s22
	s_cbranch_execz .LBB2_383
.LBB2_379:                              ;   Parent Loop BB2_231 Depth=1
                                        ; =>  This Inner Loop Header: Depth=2
	s_add_co_i32 s25, s25, 1
	s_delay_alu instid0(SALU_CYCLE_1) | instskip(SKIP_1) | instid1(SALU_CYCLE_1)
	s_cmp_lg_u32 s25, 0x2710
	s_cselect_b32 s26, -1, 0
	s_and_b32 vcc_lo, exec_lo, s26
	s_cbranch_vccz .LBB2_381
; %bb.380:                              ;   in Loop: Header=BB2_379 Depth=2
	s_mov_b32 s28, -1
	s_or_b32 s24, s24, exec_lo
	s_and_saveexec_b32 s27, s26
	s_cbranch_execz .LBB2_378
	s_branch .LBB2_382
.LBB2_381:                              ;   in Loop: Header=BB2_379 Depth=2
	s_trap 2
	ds_load_b64 v[52:53], v0
	s_and_not1_b32 s26, s26, exec_lo
	s_mov_b32 s25, 0
	s_wait_loadcnt_dscnt 0x0
	flat_load_b32 v28, v[52:53] scope:SCOPE_SYS
	s_wait_loadcnt_dscnt 0x0
	global_inv scope:SCOPE_SYS
	v_cmp_eq_u32_e32 vcc_lo, 0, v28
	s_and_b32 s27, vcc_lo, exec_lo
	s_delay_alu instid0(SALU_CYCLE_1)
	s_or_b32 s26, s26, s27
	s_mov_b32 s28, -1
	s_or_b32 s24, s24, exec_lo
	s_and_saveexec_b32 s27, s26
	s_cbranch_execz .LBB2_378
.LBB2_382:                              ;   in Loop: Header=BB2_379 Depth=2
	s_sleep 1
	s_trap 2
	ds_load_b64 v[52:53], v0
	s_wait_dscnt 0x0
	s_and_not1_b32 s24, s24, exec_lo
	v_cmp_ge_u64_e32 vcc_lo, v[52:53], v[10:11]
	s_or_not1_b32 s28, vcc_lo, exec_lo
	s_branch .LBB2_378
.LBB2_383:                              ;   in Loop: Header=BB2_231 Depth=1
	s_or_b32 exec_lo, exec_lo, s22
	s_and_saveexec_b32 s22, s23
	s_delay_alu instid0(SALU_CYCLE_1)
	s_xor_b32 s22, exec_lo, s22
	s_cbranch_execz .LBB2_385
; %bb.384:                              ;   in Loop: Header=BB2_231 Depth=1
	ds_store_b32 v0, v80
	s_trap 2
.LBB2_385:                              ;   in Loop: Header=BB2_231 Depth=1
	s_or_b32 exec_lo, exec_lo, s21
	;;#ASMSTART
	s_wakeup
	;;#ASMEND
.LBB2_386:                              ;   in Loop: Header=BB2_231 Depth=1
	s_or_b32 exec_lo, exec_lo, s20
.LBB2_387:                              ;   in Loop: Header=BB2_231 Depth=1
	s_and_not1_saveexec_b32 s18, s18
	s_cbranch_execz .LBB2_389
; %bb.388:                              ;   in Loop: Header=BB2_231 Depth=1
	global_wb scope:SCOPE_DEV
	s_wait_storecnt 0x0
	s_wait_loadcnt_dscnt 0x0
	global_inv scope:SCOPE_DEV
	s_barrier_signal -1
	s_barrier_wait -1
.LBB2_389:                              ;   in Loop: Header=BB2_231 Depth=1
	s_or_b32 exec_lo, exec_lo, s18
.LBB2_390:                              ;   in Loop: Header=BB2_231 Depth=1
	s_delay_alu instid0(SALU_CYCLE_1)
	s_or_b32 exec_lo, exec_lo, s7
	s_trap 2
	ds_load_b32 v28, v0
	v_sub_nc_u32_e32 v50, v50, v64
	s_wait_dscnt 0x0
	v_readfirstlane_b32 s7, v28
	v_and_b32_e32 v28, 16, v30
	s_delay_alu instid0(VALU_DEP_3) | instskip(SKIP_1) | instid1(VALU_DEP_2)
	v_min_i32_e32 v50, v51, v50
	s_cmp_eq_u32 s7, 0
	v_cmp_ne_u32_e64 s7, 0, v28
	s_delay_alu instid0(VALU_DEP_2) | instskip(SKIP_1) | instid1(SALU_CYCLE_1)
	v_cmp_lt_i32_e32 vcc_lo, 0, v50
	s_cselect_b32 s18, -1, 0
	s_and_b32 s18, vcc_lo, s18
	s_delay_alu instid0(SALU_CYCLE_1) | instskip(NEXT) | instid1(SALU_CYCLE_1)
	s_and_b32 s18, s7, s18
	s_and_saveexec_b32 s7, s18
	s_cbranch_execz .LBB2_392
; %bb.391:                              ;   in Loop: Header=BB2_231 Depth=1
	global_wb scope:SCOPE_SYS
	s_wait_loadcnt 0x0
	s_wait_storecnt 0x0
	global_inv scope:SCOPE_SYS
.LBB2_392:                              ;   in Loop: Header=BB2_231 Depth=1
	s_or_b32 exec_lo, exec_lo, s7
	v_and_b32_e32 v28, 32, v30
	s_mov_b32 s7, exec_lo
	s_delay_alu instid0(VALU_DEP_1)
	v_cmpx_ne_u32_e32 0, v28
	s_cbranch_execz .LBB2_229
; %bb.393:                              ;   in Loop: Header=BB2_231 Depth=1
	v_add_nc_u64_e32 v[8:9], 1, v[8:9]
	global_wb scope:SCOPE_SYS
	s_wait_loadcnt 0x0
	s_wait_storecnt 0x0
	flat_store_b64 v[18:19], v[8:9] scope:SCOPE_SYS
	s_branch .LBB2_229
.LBB2_394:
	s_or_b32 exec_lo, exec_lo, s15
.LBB2_395:
	s_delay_alu instid0(SALU_CYCLE_1)
	s_or_b32 exec_lo, exec_lo, s14
.LBB2_396:
	s_delay_alu instid0(SALU_CYCLE_1)
	s_or_b32 exec_lo, exec_lo, s10
                                        ; implicit-def: $vgpr14_vgpr15
                                        ; implicit-def: $vgpr4_vgpr5
                                        ; implicit-def: $vgpr26_vgpr27
                                        ; implicit-def: $vgpr20
                                        ; implicit-def: $vgpr24_vgpr25
                                        ; implicit-def: $vgpr22_vgpr23
                                        ; implicit-def: $vgpr18_vgpr19
                                        ; implicit-def: $vgpr0
                                        ; implicit-def: $vgpr49
                                        ; implicit-def: $vgpr12_vgpr13
.LBB2_397:
	s_and_not1_saveexec_b32 s13, s13
	s_cbranch_execz .LBB2_573
; %bb.398:
	v_mov_b64_e32 v[10:11], 0
	s_mov_b32 s14, exec_lo
	v_cmpx_ne_u64_e32 0, v[4:5]
	s_cbranch_execz .LBB2_572
; %bb.399:
	v_dual_ashrrev_i32 v10, 31, v0 :: v_dual_bitop2_b32 v11, 31, v31 bitop3:0x40
	v_dual_ashrrev_i32 v21, 31, v20 :: v_dual_mov_b32 v33, 0
	s_delay_alu instid0(VALU_DEP_2)
	v_dual_lshlrev_b32 v32, 3, v1 :: v_dual_lshrrev_b32 v10, 27, v10
	v_cmp_ge_i32_e64 s1, v0, v1
	s_lshr_b32 s4, s12, 27
	v_cmp_eq_u32_e32 vcc_lo, 32, v1
	s_wait_dscnt 0x0
	v_mov_b64_e32 v[34:35], 0
	v_dual_add_nc_u32 v10, v0, v10 :: v_dual_lshrrev_b32 v28, 5, v1
	s_add_co_i32 s12, s12, s4
	v_cmp_eq_u32_e64 s4, 0, v11
	v_cmp_ne_u64_e64 s7, 0, v[26:27]
	s_delay_alu instid0(VALU_DEP_3) | instskip(SKIP_3) | instid1(VALU_DEP_3)
	v_and_b32_e32 v36, 0xffffffe0, v10
	v_dual_mov_b32 v29, v33 :: v_dual_ashrrev_i32 v70, 5, v10
	v_mov_b64_e32 v[52:53], 0
	v_cmp_ne_u32_e64 s2, 32, v1
	v_dual_sub_nc_u32 v0, v0, v36 :: v_dual_lshlrev_b32 v10, 10, v70
	v_cmp_ne_u32_e64 s3, v1, v82
	v_dual_mov_b32 v37, v33 :: v_dual_lshlrev_b32 v36, 10, v28
	v_dual_mov_b32 v39, v33 :: v_dual_lshlrev_b32 v38, 9, v28
	s_delay_alu instid0(VALU_DEP_4)
	v_lshl_add_u32 v48, v0, 4, v10
	v_mov_b64_e32 v[10:11], 0
	v_dual_mov_b32 v51, v33 :: v_dual_lshlrev_b32 v50, 8, v28
	v_cmp_gt_i32_e64 s5, 1, v0
	v_cmp_lt_i32_e64 s6, v0, v49
	v_dual_mov_b32 v80, 1 :: v_dual_ashrrev_i32 v49, 31, v48
	v_and_b32_e32 v71, 0xff00, v32
	s_ashr_i32 s15, s12, 5
	s_mov_b32 s12, 0
	s_xor_b32 s16, vcc_lo, -1
	s_trap 2
	s_branch .LBB2_403
.LBB2_400:                              ;   in Loop: Header=BB2_403 Depth=1
	s_wait_xcnt 0x0
	s_or_b32 exec_lo, exec_lo, s17
	v_add_nc_u64_e32 v[8:9], 1, v[8:9]
	global_wb scope:SCOPE_SYS
	s_wait_storecnt 0x0
	s_wait_loadcnt_dscnt 0x0
	flat_store_b64 v[18:19], v[8:9] scope:SCOPE_SYS
.LBB2_401:                              ;   in Loop: Header=BB2_403 Depth=1
	s_wait_xcnt 0x0
	s_or_b32 exec_lo, exec_lo, s10
.LBB2_402:                              ;   in Loop: Header=BB2_403 Depth=1
	s_delay_alu instid0(SALU_CYCLE_1) | instskip(SKIP_1) | instid1(VALU_DEP_1)
	s_or_b32 exec_lo, exec_lo, s18
	v_add_nc_u64_e32 v[52:53], v[52:53], v[12:13]
	v_cmp_ge_u64_e32 vcc_lo, v[52:53], v[4:5]
	s_or_b32 s12, vcc_lo, s12
	s_delay_alu instid0(SALU_CYCLE_1)
	s_and_not1_b32 exec_lo, exec_lo, s12
	s_cbranch_execz .LBB2_571
.LBB2_403:                              ; =>This Loop Header: Depth=1
                                        ;     Child Loop BB2_412 Depth 2
                                        ;     Child Loop BB2_436 Depth 2
	;; [unrolled: 1-line block ×10, first 2 shown]
	v_sub_nc_u64_e32 v[54:55], v[4:5], v[52:53]
	s_delay_alu instid0(VALU_DEP_1) | instskip(NEXT) | instid1(VALU_DEP_1)
	v_min_u64 v[54:55], v[12:13], v[54:55]
	v_add_nc_u32_e32 v32, 15, v54
	s_delay_alu instid0(VALU_DEP_2) | instskip(NEXT) | instid1(VALU_DEP_2)
	v_cmp_eq_u64_e32 vcc_lo, 0, v[54:55]
	v_and_b32_e32 v32, 0xffffff0, v32
	s_or_b32 s17, s1, vcc_lo
	s_delay_alu instid0(SALU_CYCLE_1) | instskip(NEXT) | instid1(VALU_DEP_1)
	s_xor_b32 s10, s17, -1
	v_dual_mov_b32 v32, 0 :: v_dual_max_i32 v55, s15, v32
	s_and_saveexec_b32 s18, s10
	s_cbranch_execz .LBB2_522
; %bb.404:                              ;   in Loop: Header=BB2_403 Depth=1
	s_and_saveexec_b32 s10, s0
	s_cbranch_execz .LBB2_406
; %bb.405:                              ;   in Loop: Header=BB2_403 Depth=1
	s_trap 2
	ds_load_b64 v[64:65], v0
	s_wait_dscnt 0x0
	v_lshl_add_u64 v[64:65], v[14:15], 3, v[64:65]
	s_delay_alu instid0(VALU_DEP_1)
	v_lshl_add_u64 v[64:65], v[52:53], 3, v[64:65]
	ds_store_b64 v0, v[64:65]
	ds_store_b64 v0, v[34:35]
.LBB2_406:                              ;   in Loop: Header=BB2_403 Depth=1
	s_or_b32 exec_lo, exec_lo, s10
	v_and_b32_e32 v32, 8, v30
	v_min_u32_e32 v55, v55, v54
	s_mov_b32 s19, exec_lo
	s_delay_alu instid0(VALU_DEP_2)
	v_cmpx_ne_u32_e32 0, v32
	s_cbranch_execz .LBB2_428
; %bb.407:                              ;   in Loop: Header=BB2_403 Depth=1
	s_wait_loadcnt 0x0
	v_add_nc_u64_e32 v[66:67], 8, v[24:25]
	v_add_nc_u64_e32 v[64:65], 1, v[8:9]
	s_mov_b32 s20, exec_lo
	s_delay_alu instid0(VALU_DEP_1)
	v_cmpx_lt_u64_e64 v[66:67], v[64:65]
	s_cbranch_execz .LBB2_419
; %bb.408:                              ;   in Loop: Header=BB2_403 Depth=1
	v_and_b32_e32 v9, 64, v30
	s_mov_b32 s21, 0
	s_mov_b32 s25, 0
                                        ; implicit-def: $sgpr22
                                        ; implicit-def: $sgpr23
                                        ; implicit-def: $sgpr24
	s_delay_alu instid0(VALU_DEP_1)
	v_cmp_eq_u32_e32 vcc_lo, 0, v9
	s_branch .LBB2_412
.LBB2_409:                              ;   in Loop: Header=BB2_412 Depth=2
	s_wait_loadcnt_dscnt 0x0
	v_add_nc_u64_e32 v[66:67], 8, v[24:25]
	s_or_b32 s28, s28, exec_lo
	s_delay_alu instid0(VALU_DEP_1)
	v_cmp_ge_u64_e64 s10, v[66:67], v[64:65]
	s_or_not1_b32 s27, s10, exec_lo
.LBB2_410:                              ;   in Loop: Header=BB2_412 Depth=2
	s_or_b32 exec_lo, exec_lo, s40
	s_delay_alu instid0(SALU_CYCLE_1)
	s_and_not1_b32 s10, s24, exec_lo
	s_and_b32 s24, s28, exec_lo
	s_and_not1_b32 s23, s23, exec_lo
	s_and_b32 s27, s27, exec_lo
	s_or_b32 s24, s10, s24
	s_or_b32 s23, s23, s27
.LBB2_411:                              ;   in Loop: Header=BB2_412 Depth=2
	s_or_b32 exec_lo, exec_lo, s26
	s_delay_alu instid0(SALU_CYCLE_1) | instskip(NEXT) | instid1(SALU_CYCLE_1)
	s_and_b32 s10, exec_lo, s23
	s_or_b32 s21, s10, s21
	s_and_not1_b32 s10, s22, exec_lo
	s_and_b32 s22, s24, exec_lo
	s_delay_alu instid0(SALU_CYCLE_1)
	s_or_b32 s22, s10, s22
	s_and_not1_b32 exec_lo, exec_lo, s21
	s_cbranch_execz .LBB2_416
.LBB2_412:                              ;   Parent Loop BB2_403 Depth=1
                                        ; =>  This Inner Loop Header: Depth=2
	s_sleep 1
	s_wait_loadcnt_dscnt 0x0
	flat_load_b64 v[24:25], v[18:19] scope:SCOPE_SYS
	s_or_b32 s24, s24, exec_lo
	s_or_b32 s23, s23, exec_lo
                                        ; implicit-def: $vgpr9
	s_wait_xcnt 0x0
	s_and_saveexec_b32 s26, vcc_lo
	s_cbranch_execz .LBB2_411
; %bb.413:                              ;   in Loop: Header=BB2_412 Depth=2
	s_cmp_lt_i32 s25, 0x270f
	s_mov_b32 s27, -1
	s_cselect_b32 s29, -1, 0
	s_cmp_gt_i32 s25, 0x270e
	s_cbranch_scc0 .LBB2_415
; %bb.414:                              ;   in Loop: Header=BB2_412 Depth=2
	s_trap 2
	ds_load_b64 v[66:67], v0
	s_and_not1_b32 s25, s29, exec_lo
	s_mov_b32 s28, 0
	s_wait_storecnt 0x0
	s_wait_loadcnt_dscnt 0x0
	flat_load_b32 v9, v[66:67] scope:SCOPE_SYS
	s_wait_loadcnt_dscnt 0x0
	global_inv scope:SCOPE_SYS
	v_cmp_eq_u32_e64 s10, 0, v9
	s_and_b32 s10, s10, exec_lo
	s_delay_alu instid0(SALU_CYCLE_1)
	s_or_b32 s29, s25, s10
	s_mov_b32 s25, 0
	s_and_saveexec_b32 s40, s29
	s_cbranch_execz .LBB2_410
	s_branch .LBB2_409
.LBB2_415:                              ;   in Loop: Header=BB2_412 Depth=2
	s_add_co_i32 s25, s25, 1
	s_mov_b32 s28, -1
                                        ; implicit-def: $vgpr9
	s_and_saveexec_b32 s40, s29
	s_cbranch_execz .LBB2_410
	s_branch .LBB2_409
.LBB2_416:                              ;   in Loop: Header=BB2_403 Depth=1
	s_or_b32 exec_lo, exec_lo, s21
	s_xor_b32 s10, s22, -1
	s_delay_alu instid0(SALU_CYCLE_1) | instskip(NEXT) | instid1(SALU_CYCLE_1)
	s_and_saveexec_b32 s21, s10
	s_xor_b32 s10, exec_lo, s21
	s_cbranch_execz .LBB2_418
; %bb.417:                              ;   in Loop: Header=BB2_403 Depth=1
	v_or_b32_e32 v30, 64, v30
	s_wait_storecnt 0x0
	s_wait_loadcnt_dscnt 0x0
	ds_store_b32 v0, v9
	s_trap 2
.LBB2_418:                              ;   in Loop: Header=BB2_403 Depth=1
	s_or_b32 exec_lo, exec_lo, s10
.LBB2_419:                              ;   in Loop: Header=BB2_403 Depth=1
	s_delay_alu instid0(SALU_CYCLE_1) | instskip(SKIP_4) | instid1(VALU_DEP_2)
	s_or_b32 exec_lo, exec_lo, s20
	v_and_b32_e32 v9, 0x100, v30
	v_and_b32_e32 v32, 7, v8
	s_mov_b32 s10, -1
	;;#ASMSTART
	s_wakeup
	;;#ASMEND
	v_cmp_ne_u32_e32 vcc_lo, 0, v9
                                        ; implicit-def: $vgpr8_vgpr9
	s_and_saveexec_b32 s20, vcc_lo
	s_cbranch_execz .LBB2_423
; %bb.420:                              ;   in Loop: Header=BB2_403 Depth=1
	v_mad_nc_u64_u32 v[66:67], v32, 24, v[6:7]
	v_dual_mov_b32 v9, v33 :: v_dual_lshlrev_b32 v8, 3, v55
	s_mov_b32 s21, exec_lo
	s_clause 0x1
	flat_load_b32 v68, v[66:67]
	flat_store_b64 v[66:67], v[8:9] offset:8
                                        ; implicit-def: $vgpr8_vgpr9
	s_wait_loadcnt_dscnt 0x1
	v_cmp_ne_u32_e32 vcc_lo, 1, v68
	s_wait_xcnt 0x0
	v_cmpx_eq_u32_e32 1, v68
	s_cbranch_execz .LBB2_422
; %bb.421:                              ;   in Loop: Header=BB2_403 Depth=1
	flat_load_b32 v8, v[66:67] offset:4 scope:SCOPE_SYS
	s_wait_loadcnt_dscnt 0x0
	v_ashrrev_i32_e32 v9, 31, v8
	s_delay_alu instid0(VALU_DEP_1)
	v_lshrrev_b64 v[8:9], 3, v[8:9]
.LBB2_422:                              ;   in Loop: Header=BB2_403 Depth=1
	s_wait_xcnt 0x0
	s_or_b32 exec_lo, exec_lo, s21
	s_delay_alu instid0(SALU_CYCLE_1)
	s_or_not1_b32 s10, vcc_lo, exec_lo
.LBB2_423:                              ;   in Loop: Header=BB2_403 Depth=1
	s_or_b32 exec_lo, exec_lo, s20
	s_and_saveexec_b32 s20, s10
; %bb.424:                              ;   in Loop: Header=BB2_403 Depth=1
	v_mul_u64_e32 v[8:9], v[32:33], v[20:21]
; %bb.425:                              ;   in Loop: Header=BB2_403 Depth=1
	s_or_b32 exec_lo, exec_lo, s20
	v_and_b32_e32 v32, 0x2000, v30
	s_delay_alu instid0(VALU_DEP_2)
	v_lshl_add_u64 v[8:9], v[8:9], 3, v[22:23]
	s_mov_b32 s10, exec_lo
	ds_store_b64 v0, v[8:9] offset:784
	v_cmpx_ne_u32_e32 0, v32
	s_cbranch_execz .LBB2_427
; %bb.426:                              ;   in Loop: Header=BB2_403 Depth=1
	ds_load_b64 v[8:9], v0 offset:872
	s_wait_dscnt 0x0
	v_add_nc_u64_e32 v[8:9], 1, v[8:9]
	ds_store_b64 v0, v[8:9] offset:872
.LBB2_427:                              ;   in Loop: Header=BB2_403 Depth=1
	s_or_b32 exec_lo, exec_lo, s10
	v_mov_b64_e32 v[8:9], v[64:65]
.LBB2_428:                              ;   in Loop: Header=BB2_403 Depth=1
	s_or_b32 exec_lo, exec_lo, s19
	s_and_saveexec_b32 s10, s2
	s_cbranch_execz .LBB2_447
; %bb.429:                              ;   in Loop: Header=BB2_403 Depth=1
	s_and_saveexec_b32 s19, s3
	s_delay_alu instid0(SALU_CYCLE_1)
	s_xor_b32 s19, exec_lo, s19
	s_cbranch_execz .LBB2_444
; %bb.430:                              ;   in Loop: Header=BB2_403 Depth=1
	s_and_saveexec_b32 s20, s4
	s_cbranch_execz .LBB2_443
; %bb.431:                              ;   in Loop: Header=BB2_403 Depth=1
	s_mov_b32 s22, exec_lo
	s_mov_b32 s21, exec_lo
	v_mbcnt_lo_u32_b32 v32, s22, 0
	global_wb scope:SCOPE_DEV
	s_wait_storecnt 0x0
	s_wait_loadcnt_dscnt 0x0
	global_inv scope:SCOPE_DEV
	v_cmpx_eq_u32_e32 0, v32
	s_cbranch_execz .LBB2_433
; %bb.432:                              ;   in Loop: Header=BB2_403 Depth=1
	s_bcnt1_i32_b32 s22, s22
	s_delay_alu instid0(SALU_CYCLE_1)
	v_mov_b32_e32 v32, s22
	s_wait_loadcnt 0x0
	ds_add_u64 v0, v[32:33]
	s_trap 2
.LBB2_433:                              ;   in Loop: Header=BB2_403 Depth=1
	s_or_b32 exec_lo, exec_lo, s21
	s_trap 2
	ds_load_b64 v[64:65], v0
	s_wait_dscnt 0x0
	v_add_nc_u64_e32 v[10:11], v[10:11], v[28:29]
	s_mov_b32 s21, exec_lo
	s_delay_alu instid0(VALU_DEP_1)
	v_cmpx_lt_u64_e64 v[64:65], v[10:11]
	s_cbranch_execz .LBB2_442
; %bb.434:                              ;   in Loop: Header=BB2_403 Depth=1
	s_mov_b32 s22, 0
	s_mov_b32 s25, 0
                                        ; implicit-def: $sgpr23
                                        ; implicit-def: $sgpr24
	s_branch .LBB2_436
.LBB2_435:                              ;   in Loop: Header=BB2_436 Depth=2
	s_or_b32 exec_lo, exec_lo, s27
	s_delay_alu instid0(SALU_CYCLE_1) | instskip(NEXT) | instid1(SALU_CYCLE_1)
	s_and_b32 s26, exec_lo, s28
	s_or_b32 s22, s26, s22
	s_and_not1_b32 s23, s23, exec_lo
	s_and_b32 s26, s24, exec_lo
	s_delay_alu instid0(SALU_CYCLE_1)
	s_or_b32 s23, s23, s26
	s_and_not1_b32 exec_lo, exec_lo, s22
	s_cbranch_execz .LBB2_440
.LBB2_436:                              ;   Parent Loop BB2_403 Depth=1
                                        ; =>  This Inner Loop Header: Depth=2
	s_add_co_i32 s25, s25, 1
	s_delay_alu instid0(SALU_CYCLE_1) | instskip(SKIP_1) | instid1(SALU_CYCLE_1)
	s_cmp_lg_u32 s25, 0x2710
	s_cselect_b32 s26, -1, 0
	s_and_b32 vcc_lo, exec_lo, s26
	s_cbranch_vccz .LBB2_438
; %bb.437:                              ;   in Loop: Header=BB2_436 Depth=2
	s_mov_b32 s28, -1
	s_or_b32 s24, s24, exec_lo
	s_and_saveexec_b32 s27, s26
	s_cbranch_execz .LBB2_435
	s_branch .LBB2_439
.LBB2_438:                              ;   in Loop: Header=BB2_436 Depth=2
	s_trap 2
	ds_load_b64 v[64:65], v0
	s_and_not1_b32 s26, s26, exec_lo
	s_mov_b32 s25, 0
	s_wait_loadcnt_dscnt 0x0
	flat_load_b32 v32, v[64:65] scope:SCOPE_SYS
	s_wait_loadcnt_dscnt 0x0
	global_inv scope:SCOPE_SYS
	v_cmp_eq_u32_e32 vcc_lo, 0, v32
	s_and_b32 s27, vcc_lo, exec_lo
	s_delay_alu instid0(SALU_CYCLE_1)
	s_or_b32 s26, s26, s27
	s_mov_b32 s28, -1
	s_or_b32 s24, s24, exec_lo
	s_and_saveexec_b32 s27, s26
	s_cbranch_execz .LBB2_435
.LBB2_439:                              ;   in Loop: Header=BB2_436 Depth=2
	s_sleep 1
	s_trap 2
	ds_load_b64 v[64:65], v0
	s_wait_dscnt 0x0
	s_and_not1_b32 s24, s24, exec_lo
	v_cmp_ge_u64_e32 vcc_lo, v[64:65], v[10:11]
	s_or_not1_b32 s28, vcc_lo, exec_lo
	s_branch .LBB2_435
.LBB2_440:                              ;   in Loop: Header=BB2_403 Depth=1
	s_or_b32 exec_lo, exec_lo, s22
	s_and_saveexec_b32 s22, s23
	s_delay_alu instid0(SALU_CYCLE_1)
	s_xor_b32 s22, exec_lo, s22
	s_cbranch_execz .LBB2_442
; %bb.441:                              ;   in Loop: Header=BB2_403 Depth=1
	ds_store_b32 v0, v80
	s_trap 2
.LBB2_442:                              ;   in Loop: Header=BB2_403 Depth=1
	s_or_b32 exec_lo, exec_lo, s21
	;;#ASMSTART
	s_wakeup
	;;#ASMEND
.LBB2_443:                              ;   in Loop: Header=BB2_403 Depth=1
	s_or_b32 exec_lo, exec_lo, s20
.LBB2_444:                              ;   in Loop: Header=BB2_403 Depth=1
	s_and_not1_saveexec_b32 s19, s19
	s_cbranch_execz .LBB2_446
; %bb.445:                              ;   in Loop: Header=BB2_403 Depth=1
	global_wb scope:SCOPE_DEV
	s_wait_storecnt 0x0
	s_wait_loadcnt_dscnt 0x0
	global_inv scope:SCOPE_DEV
	s_barrier_signal -1
	s_barrier_wait -1
.LBB2_446:                              ;   in Loop: Header=BB2_403 Depth=1
	s_or_b32 exec_lo, exec_lo, s19
.LBB2_447:                              ;   in Loop: Header=BB2_403 Depth=1
	s_delay_alu instid0(SALU_CYCLE_1) | instskip(SKIP_3) | instid1(VALU_DEP_1)
	s_or_b32 exec_lo, exec_lo, s10
	s_trap 2
	ds_load_b32 v68, v0
	v_and_b32_e32 v32, 0x4000, v30
	v_cmp_ne_u32_e32 vcc_lo, 0, v32
	s_and_b32 s19, s16, vcc_lo
	s_delay_alu instid0(SALU_CYCLE_1)
	s_and_saveexec_b32 s10, s19
	s_cbranch_execz .LBB2_466
; %bb.448:                              ;   in Loop: Header=BB2_403 Depth=1
	s_and_saveexec_b32 s19, s3
	s_delay_alu instid0(SALU_CYCLE_1)
	s_xor_b32 s19, exec_lo, s19
	s_cbranch_execz .LBB2_463
; %bb.449:                              ;   in Loop: Header=BB2_403 Depth=1
	s_and_saveexec_b32 s20, s4
	s_cbranch_execz .LBB2_462
; %bb.450:                              ;   in Loop: Header=BB2_403 Depth=1
	s_mov_b32 s22, exec_lo
	s_mov_b32 s21, exec_lo
	v_mbcnt_lo_u32_b32 v32, s22, 0
	global_wb scope:SCOPE_DEV
	s_wait_storecnt 0x0
	s_wait_loadcnt_dscnt 0x0
	global_inv scope:SCOPE_DEV
	v_cmpx_eq_u32_e32 0, v32
	s_cbranch_execz .LBB2_452
; %bb.451:                              ;   in Loop: Header=BB2_403 Depth=1
	s_bcnt1_i32_b32 s22, s22
	s_delay_alu instid0(SALU_CYCLE_1)
	v_mov_b32_e32 v32, s22
	s_wait_loadcnt 0x0
	ds_add_u64 v0, v[32:33]
	s_trap 2
.LBB2_452:                              ;   in Loop: Header=BB2_403 Depth=1
	s_or_b32 exec_lo, exec_lo, s21
	s_trap 2
	ds_load_b64 v[64:65], v0
	s_wait_dscnt 0x0
	v_add_nc_u64_e32 v[10:11], v[10:11], v[28:29]
	s_mov_b32 s21, exec_lo
	s_delay_alu instid0(VALU_DEP_1)
	v_cmpx_lt_u64_e64 v[64:65], v[10:11]
	s_cbranch_execz .LBB2_461
; %bb.453:                              ;   in Loop: Header=BB2_403 Depth=1
	s_mov_b32 s22, 0
	s_mov_b32 s25, 0
                                        ; implicit-def: $sgpr23
                                        ; implicit-def: $sgpr24
	s_branch .LBB2_455
.LBB2_454:                              ;   in Loop: Header=BB2_455 Depth=2
	s_or_b32 exec_lo, exec_lo, s27
	s_delay_alu instid0(SALU_CYCLE_1) | instskip(NEXT) | instid1(SALU_CYCLE_1)
	s_and_b32 s26, exec_lo, s28
	s_or_b32 s22, s26, s22
	s_and_not1_b32 s23, s23, exec_lo
	s_and_b32 s26, s24, exec_lo
	s_delay_alu instid0(SALU_CYCLE_1)
	s_or_b32 s23, s23, s26
	s_and_not1_b32 exec_lo, exec_lo, s22
	s_cbranch_execz .LBB2_459
.LBB2_455:                              ;   Parent Loop BB2_403 Depth=1
                                        ; =>  This Inner Loop Header: Depth=2
	s_add_co_i32 s25, s25, 1
	s_delay_alu instid0(SALU_CYCLE_1) | instskip(SKIP_1) | instid1(SALU_CYCLE_1)
	s_cmp_lg_u32 s25, 0x2710
	s_cselect_b32 s26, -1, 0
	s_and_b32 vcc_lo, exec_lo, s26
	s_cbranch_vccz .LBB2_457
; %bb.456:                              ;   in Loop: Header=BB2_455 Depth=2
	s_mov_b32 s28, -1
	s_or_b32 s24, s24, exec_lo
	s_and_saveexec_b32 s27, s26
	s_cbranch_execz .LBB2_454
	s_branch .LBB2_458
.LBB2_457:                              ;   in Loop: Header=BB2_455 Depth=2
	s_trap 2
	ds_load_b64 v[64:65], v0
	s_and_not1_b32 s26, s26, exec_lo
	s_mov_b32 s25, 0
	s_wait_loadcnt_dscnt 0x0
	flat_load_b32 v32, v[64:65] scope:SCOPE_SYS
	s_wait_loadcnt_dscnt 0x0
	global_inv scope:SCOPE_SYS
	v_cmp_eq_u32_e32 vcc_lo, 0, v32
	s_and_b32 s27, vcc_lo, exec_lo
	s_delay_alu instid0(SALU_CYCLE_1)
	s_or_b32 s26, s26, s27
	s_mov_b32 s28, -1
	s_or_b32 s24, s24, exec_lo
	s_and_saveexec_b32 s27, s26
	s_cbranch_execz .LBB2_454
.LBB2_458:                              ;   in Loop: Header=BB2_455 Depth=2
	s_sleep 1
	s_trap 2
	ds_load_b64 v[64:65], v0
	s_wait_dscnt 0x0
	s_and_not1_b32 s24, s24, exec_lo
	v_cmp_ge_u64_e32 vcc_lo, v[64:65], v[10:11]
	s_or_not1_b32 s28, vcc_lo, exec_lo
	s_branch .LBB2_454
.LBB2_459:                              ;   in Loop: Header=BB2_403 Depth=1
	s_or_b32 exec_lo, exec_lo, s22
	s_and_saveexec_b32 s22, s23
	s_delay_alu instid0(SALU_CYCLE_1)
	s_xor_b32 s22, exec_lo, s22
	s_cbranch_execz .LBB2_461
; %bb.460:                              ;   in Loop: Header=BB2_403 Depth=1
	ds_store_b32 v0, v80
	s_trap 2
.LBB2_461:                              ;   in Loop: Header=BB2_403 Depth=1
	s_or_b32 exec_lo, exec_lo, s21
	;;#ASMSTART
	s_wakeup
	;;#ASMEND
.LBB2_462:                              ;   in Loop: Header=BB2_403 Depth=1
	s_or_b32 exec_lo, exec_lo, s20
.LBB2_463:                              ;   in Loop: Header=BB2_403 Depth=1
	s_and_not1_saveexec_b32 s19, s19
	s_cbranch_execz .LBB2_465
; %bb.464:                              ;   in Loop: Header=BB2_403 Depth=1
	global_wb scope:SCOPE_DEV
	s_wait_storecnt 0x0
	s_wait_loadcnt_dscnt 0x0
	global_inv scope:SCOPE_DEV
	s_barrier_signal -1
	s_barrier_wait -1
.LBB2_465:                              ;   in Loop: Header=BB2_403 Depth=1
	s_or_b32 exec_lo, exec_lo, s19
.LBB2_466:                              ;   in Loop: Header=BB2_403 Depth=1
	s_delay_alu instid0(SALU_CYCLE_1)
	s_or_b32 exec_lo, exec_lo, s10
	s_trap 2
	ds_load_b64 v[64:65], v0
	s_wait_dscnt 0x0
	v_cmp_eq_u64_e32 vcc_lo, 0, v[64:65]
	s_cbranch_vccnz .LBB2_474
; %bb.467:                              ;   in Loop: Header=BB2_403 Depth=1
	s_trap 2
	ds_load_b64 v[66:67], v0
	s_wait_dscnt 0x0
	v_cmp_eq_u64_e32 vcc_lo, 0, v[66:67]
	s_cbranch_vccnz .LBB2_474
; %bb.468:                              ;   in Loop: Header=BB2_403 Depth=1
	s_mov_b32 s10, -1
	s_and_saveexec_b32 s19, s5
	s_cbranch_execz .LBB2_470
; %bb.469:                              ;   in Loop: Header=BB2_403 Depth=1
	ds_load_b32 v32, v0 offset:720
	s_wait_dscnt 0x0
	v_and_b32_e32 v32, 15, v32
	s_delay_alu instid0(VALU_DEP_1)
	v_cmp_eq_u32_e32 vcc_lo, 0, v32
	s_or_not1_b32 s10, vcc_lo, exec_lo
.LBB2_470:                              ;   in Loop: Header=BB2_403 Depth=1
	s_or_b32 exec_lo, exec_lo, s19
	s_and_saveexec_b32 s19, s6
	s_cbranch_execz .LBB2_472
; %bb.471:                              ;   in Loop: Header=BB2_403 Depth=1
	ds_load_b32 v32, v0 offset:784
	s_wait_dscnt 0x0
	v_and_b32_e32 v32, 15, v32
	s_delay_alu instid0(VALU_DEP_1) | instskip(SKIP_3) | instid1(SALU_CYCLE_1)
	v_cmp_eq_u32_e32 vcc_lo, 0, v32
	s_and_b32 s20, s10, vcc_lo
	s_and_not1_b32 s10, s10, exec_lo
	s_and_b32 s20, s20, exec_lo
	s_or_b32 s10, s10, s20
.LBB2_472:                              ;   in Loop: Header=BB2_403 Depth=1
	s_or_b32 exec_lo, exec_lo, s19
	v_cmp_eq_u32_e32 vcc_lo, 0, v68
	s_xor_b32 s10, s10, -1
	v_mov_b32_e32 v83, 0
	v_cndmask_b32_e64 v69, 0, 1, s10
	s_mov_b32 s10, -1
	v_cndmask_b32_e32 v32, 0, v55, vcc_lo
	s_delay_alu instid0(VALU_DEP_2) | instskip(NEXT) | instid1(VALU_DEP_2)
	v_cmp_ne_u32_e32 vcc_lo, 0, v69
	v_lshlrev_b32_e32 v81, 3, v32
	s_cbranch_vccz .LBB2_475
; %bb.473:                              ;   in Loop: Header=BB2_403 Depth=1
	v_dual_mov_b32 v84, v0 :: v_dual_mov_b32 v68, v70
	s_and_saveexec_b32 s19, s10
	s_cbranch_execnz .LBB2_488
	s_branch .LBB2_496
.LBB2_474:                              ;   in Loop: Header=BB2_403 Depth=1
	s_mov_b32 s10, 0
	s_and_saveexec_b32 s19, s2
	s_cbranch_execnz .LBB2_497
	s_branch .LBB2_515
.LBB2_475:                              ;   in Loop: Header=BB2_403 Depth=1
	v_lshrrev_b32_e32 v83, 7, v32
	s_mov_b32 s10, exec_lo
	s_delay_alu instid0(VALU_DEP_1) | instskip(NEXT) | instid1(VALU_DEP_1)
	v_sub_nc_u32_e32 v86, v83, v70
	v_cmpx_lt_i32_e32 0, v86
	s_cbranch_execz .LBB2_479
; %bb.476:                              ;   in Loop: Header=BB2_403 Depth=1
	v_mov_b64_e32 v[68:69], v[48:49]
	s_mov_b32 s19, 0
.LBB2_477:                              ;   Parent Loop BB2_403 Depth=1
                                        ; =>  This Inner Loop Header: Depth=2
	s_delay_alu instid0(VALU_DEP_1)
	v_add_nc_u64_e32 v[84:85], v[64:65], v[68:69]
	v_sub_nc_u32_e32 v86, v86, v28
	s_clause 0x1
	global_load_b128 v[96:99], v[84:85], off th:TH_LOAD_NT
	global_load_b128 v[100:103], v[84:85], off offset:512 th:TH_LOAD_NT
	s_wait_xcnt 0x0
	v_add_nc_u64_e32 v[84:85], v[66:67], v[68:69]
	v_cmp_gt_i32_e32 vcc_lo, 1, v86
	v_add_nc_u64_e32 v[68:69], v[68:69], v[36:37]
	s_wait_loadcnt 0x1
	global_store_b128 v[84:85], v[96:99], off th:TH_STORE_NT
	s_wait_loadcnt 0x0
	global_store_b128 v[84:85], v[100:103], off offset:512 th:TH_STORE_NT
	s_or_b32 s19, vcc_lo, s19
	s_wait_xcnt 0x0
	s_and_not1_b32 exec_lo, exec_lo, s19
	s_cbranch_execnz .LBB2_477
; %bb.478:                              ;   in Loop: Header=BB2_403 Depth=1
	s_or_b32 exec_lo, exec_lo, s19
.LBB2_479:                              ;   in Loop: Header=BB2_403 Depth=1
	s_delay_alu instid0(SALU_CYCLE_1) | instskip(SKIP_3) | instid1(VALU_DEP_1)
	s_or_b32 exec_lo, exec_lo, s10
	v_dual_lshlrev_b32 v85, 10, v83 :: v_dual_mov_b32 v83, 0
	s_mov_b32 s10, 0
	s_mov_b32 s19, exec_lo
                                        ; implicit-def: $vgpr84
                                        ; implicit-def: $vgpr68
	v_cmpx_ne_u32_e64 v81, v85
	s_cbranch_execz .LBB2_487
; %bb.480:                              ;   in Loop: Header=BB2_403 Depth=1
	v_dual_lshlrev_b32 v68, 5, v86 :: v_dual_sub_nc_u32 v83, v81, v85
	s_mov_b32 s20, exec_lo
	s_delay_alu instid0(VALU_DEP_1) | instskip(NEXT) | instid1(VALU_DEP_1)
	v_dual_sub_nc_u32 v68, v0, v68 :: v_dual_ashrrev_i32 v84, 31, v83
	v_ashrrev_i32_e32 v69, 31, v68
	s_delay_alu instid0(VALU_DEP_1) | instskip(NEXT) | instid1(VALU_DEP_1)
	v_dual_lshrrev_b32 v84, 23, v84 :: v_dual_lshrrev_b32 v69, 27, v69
	v_add_nc_u32_e32 v69, v68, v69
	s_delay_alu instid0(VALU_DEP_1) | instskip(NEXT) | instid1(VALU_DEP_1)
	v_and_b32_e32 v86, 0xffffffe0, v69
	v_dual_add_nc_u32 v84, v83, v84 :: v_dual_sub_nc_u32 v87, v68, v86
	s_delay_alu instid0(VALU_DEP_1) | instskip(SKIP_1) | instid1(VALU_DEP_2)
	v_and_b32_e32 v86, 0xfffffe00, v84
	v_dual_ashrrev_i32 v69, 5, v69 :: v_dual_ashrrev_i32 v84, 9, v84
	v_dual_lshlrev_b32 v68, 4, v87 :: v_dual_sub_nc_u32 v96, v83, v86
	s_delay_alu instid0(VALU_DEP_1) | instskip(NEXT) | instid1(VALU_DEP_2)
	v_lshl_add_u32 v68, v69, 9, v68
	v_cmp_lt_i32_e32 vcc_lo, 15, v96
	s_delay_alu instid0(VALU_DEP_4) | instskip(NEXT) | instid1(VALU_DEP_1)
	v_add_co_ci_u32_e64 v84, null, 0, v84, vcc_lo
	v_dual_sub_nc_u32 v83, v83, v68 :: v_dual_sub_nc_u32 v97, v84, v69
	s_delay_alu instid0(VALU_DEP_1)
	v_cmpx_lt_i32_e32 15, v83
	s_cbranch_execz .LBB2_484
; %bb.481:                              ;   in Loop: Header=BB2_403 Depth=1
	v_add_nc_u32_e32 v68, v68, v85
	s_mov_b32 s21, 0
	s_delay_alu instid0(VALU_DEP_1)
	v_ashrrev_i32_e32 v69, 31, v68
.LBB2_482:                              ;   Parent Loop BB2_403 Depth=1
                                        ; =>  This Inner Loop Header: Depth=2
	s_delay_alu instid0(VALU_DEP_1) | instskip(SKIP_3) | instid1(VALU_DEP_3)
	v_add_nc_u64_e32 v[98:99], v[64:65], v[68:69]
	v_dual_sub_nc_u32 v83, v83, v38 :: v_dual_sub_nc_u32 v97, v97, v28
	v_add_nc_u64_e32 v[102:103], v[66:67], v[68:69]
	v_add_nc_u64_e32 v[68:69], v[68:69], v[38:39]
	v_cmp_gt_i32_e64 s10, 16, v83
	global_load_b128 v[98:101], v[98:99], off th:TH_LOAD_NT
	s_or_b32 s21, s10, s21
	s_wait_loadcnt 0x0
	global_store_b128 v[102:103], v[98:101], off th:TH_STORE_NT
	s_wait_xcnt 0x0
	s_and_not1_b32 exec_lo, exec_lo, s21
	s_cbranch_execnz .LBB2_482
; %bb.483:                              ;   in Loop: Header=BB2_403 Depth=1
	s_or_b32 exec_lo, exec_lo, s21
.LBB2_484:                              ;   in Loop: Header=BB2_403 Depth=1
	s_delay_alu instid0(SALU_CYCLE_1) | instskip(SKIP_3) | instid1(VALU_DEP_1)
	s_or_b32 exec_lo, exec_lo, s20
	v_dual_mov_b32 v83, 0 :: v_dual_bitop2_b32 v69, 8, v81 bitop3:0x40
	s_mov_b32 s20, 0
	s_mov_b32 s21, exec_lo
                                        ; implicit-def: $vgpr84
                                        ; implicit-def: $vgpr68
	v_cndmask_b32_e32 v81, v96, v69, vcc_lo
	s_delay_alu instid0(VALU_DEP_1)
	v_cmpx_ne_u32_e32 0, v81
	s_cbranch_execz .LBB2_486
; %bb.485:                              ;   in Loop: Header=BB2_403 Depth=1
	v_cmp_lt_i32_e64 s10, 0, v97
	s_mov_b32 s20, exec_lo
	v_dual_sub_nc_u32 v69, v96, v69 :: v_dual_cndmask_b32 v68, 0, v28, s10
	s_delay_alu instid0(VALU_DEP_1) | instskip(NEXT) | instid1(VALU_DEP_2)
	v_cndmask_b32_e32 v69, 0, v69, vcc_lo
	v_sub_nc_u32_e32 v68, v68, v97
	s_delay_alu instid0(VALU_DEP_2) | instskip(NEXT) | instid1(VALU_DEP_2)
	v_add3_u32 v83, v86, v85, v69
	v_lshl_add_u32 v84, v68, 5, v87
	s_delay_alu instid0(VALU_DEP_1) | instskip(NEXT) | instid1(VALU_DEP_1)
	v_ashrrev_i32_e32 v68, 31, v84
	v_lshrrev_b32_e32 v68, 27, v68
	s_delay_alu instid0(VALU_DEP_1) | instskip(NEXT) | instid1(VALU_DEP_1)
	v_add_nc_u32_e32 v68, v84, v68
	v_and_b32_e32 v87, 0xffffffe0, v68
	s_delay_alu instid0(VALU_DEP_1)
	v_dual_ashrrev_i32 v68, 5, v68 :: v_dual_sub_nc_u32 v84, v84, v87
.LBB2_486:                              ;   in Loop: Header=BB2_403 Depth=1
	s_or_b32 exec_lo, exec_lo, s21
	s_delay_alu instid0(SALU_CYCLE_1)
	s_and_b32 s10, s20, exec_lo
.LBB2_487:                              ;   in Loop: Header=BB2_403 Depth=1
	s_or_b32 exec_lo, exec_lo, s19
	s_and_saveexec_b32 s19, s10
	s_cbranch_execz .LBB2_496
.LBB2_488:                              ;   in Loop: Header=BB2_403 Depth=1
	s_delay_alu instid0(VALU_DEP_1) | instskip(SKIP_1) | instid1(VALU_DEP_1)
	v_dual_ashrrev_i32 v69, 31, v81 :: v_dual_lshlrev_b32 v86, 3, v84
	s_mov_b32 s20, exec_lo
	v_lshrrev_b32_e32 v69, 24, v69
	s_delay_alu instid0(VALU_DEP_1) | instskip(NEXT) | instid1(VALU_DEP_1)
	v_add_nc_u32_e32 v69, v81, v69
	v_and_b32_e32 v85, 0xffffff00, v69
	v_ashrrev_i32_e32 v87, 8, v69
	v_lshl_add_u32 v69, v68, 8, v86
	s_delay_alu instid0(VALU_DEP_3) | instskip(NEXT) | instid1(VALU_DEP_2)
	v_sub_nc_u32_e32 v86, v81, v85
	v_dual_sub_nc_u32 v96, v81, v69 :: v_dual_sub_nc_u32 v68, v87, v68
	s_delay_alu instid0(VALU_DEP_2) | instskip(NEXT) | instid1(VALU_DEP_2)
	v_cmp_lt_i32_e32 vcc_lo, 7, v86
	v_add_co_ci_u32_e64 v87, null, 0, v68, vcc_lo
	s_delay_alu instid0(VALU_DEP_3)
	v_cmpx_lt_i32_e32 7, v96
	s_cbranch_execz .LBB2_492
; %bb.489:                              ;   in Loop: Header=BB2_403 Depth=1
	v_add_nc_u32_e32 v68, v69, v83
	s_mov_b32 s21, 0
	s_delay_alu instid0(VALU_DEP_1)
	v_ashrrev_i32_e32 v69, 31, v68
.LBB2_490:                              ;   Parent Loop BB2_403 Depth=1
                                        ; =>  This Inner Loop Header: Depth=2
	s_delay_alu instid0(VALU_DEP_1) | instskip(SKIP_3) | instid1(VALU_DEP_3)
	v_add_nc_u64_e32 v[98:99], v[64:65], v[68:69]
	v_dual_sub_nc_u32 v96, v96, v50 :: v_dual_sub_nc_u32 v87, v87, v28
	v_add_nc_u64_e32 v[100:101], v[66:67], v[68:69]
	v_add_nc_u64_e32 v[68:69], v[68:69], v[50:51]
	v_cmp_gt_i32_e64 s10, 8, v96
	flat_load_b64 v[98:99], v[98:99] th:TH_LOAD_NT
	s_or_b32 s21, s10, s21
	s_wait_loadcnt_dscnt 0x0
	flat_store_b64 v[100:101], v[98:99] th:TH_STORE_NT
	s_wait_xcnt 0x0
	s_and_not1_b32 exec_lo, exec_lo, s21
	s_cbranch_execnz .LBB2_490
; %bb.491:                              ;   in Loop: Header=BB2_403 Depth=1
	s_or_b32 exec_lo, exec_lo, s21
.LBB2_492:                              ;   in Loop: Header=BB2_403 Depth=1
	s_delay_alu instid0(SALU_CYCLE_1) | instskip(SKIP_1) | instid1(VALU_DEP_1)
	s_or_b32 exec_lo, exec_lo, s20
	v_and_b32_e32 v68, 7, v81
	v_cndmask_b32_e32 v69, v86, v68, vcc_lo
	s_delay_alu instid0(VALU_DEP_1)
	v_cmp_ne_u32_e64 s10, 0, v69
	s_and_b32 exec_lo, exec_lo, s10
	s_cbranch_execz .LBB2_496
; %bb.493:                              ;   in Loop: Header=BB2_403 Depth=1
	v_cmp_lt_i32_e64 s10, 0, v87
	s_delay_alu instid0(VALU_DEP_1) | instskip(NEXT) | instid1(VALU_DEP_1)
	v_cndmask_b32_e64 v81, 0, v28, s10
	v_sub_nc_u32_e32 v81, v81, v87
	s_delay_alu instid0(VALU_DEP_1) | instskip(NEXT) | instid1(VALU_DEP_1)
	v_lshl_add_u32 v81, v81, 5, v84
	v_ashrrev_i32_e32 v84, 31, v81
	s_delay_alu instid0(VALU_DEP_1) | instskip(NEXT) | instid1(VALU_DEP_1)
	v_lshrrev_b32_e32 v84, 27, v84
	v_add_nc_u32_e32 v84, v81, v84
	s_delay_alu instid0(VALU_DEP_1) | instskip(NEXT) | instid1(VALU_DEP_1)
	v_and_b32_e32 v87, 0x1fffffe0, v84
	v_dual_lshlrev_b32 v84, 3, v84 :: v_dual_sub_nc_u32 v81, v81, v87
	s_delay_alu instid0(VALU_DEP_1) | instskip(NEXT) | instid1(VALU_DEP_1)
	v_and_b32_e32 v84, 0xffffff00, v84
	v_lshl_add_u32 v84, v81, 3, v84
	s_delay_alu instid0(VALU_DEP_1) | instskip(NEXT) | instid1(VALU_DEP_1)
	v_sub_nc_u32_e32 v81, v69, v84
	v_cmp_lt_i32_e64 s10, 7, v81
	s_and_b32 exec_lo, exec_lo, s10
	s_cbranch_execz .LBB2_496
; %bb.494:                              ;   in Loop: Header=BB2_403 Depth=1
	v_dual_sub_nc_u32 v68, v86, v68 :: v_dual_add_nc_u32 v69, v85, v83
	s_mov_b32 s10, 0
	s_delay_alu instid0(VALU_DEP_1) | instskip(NEXT) | instid1(VALU_DEP_1)
	v_cndmask_b32_e32 v68, 0, v68, vcc_lo
	v_add3_u32 v68, v69, v68, v84
	s_delay_alu instid0(VALU_DEP_1)
	v_ashrrev_i32_e32 v69, 31, v68
.LBB2_495:                              ;   Parent Loop BB2_403 Depth=1
                                        ; =>  This Inner Loop Header: Depth=2
	s_delay_alu instid0(VALU_DEP_1) | instskip(SKIP_3) | instid1(VALU_DEP_3)
	v_add_nc_u64_e32 v[84:85], v[64:65], v[68:69]
	v_sub_nc_u32_e32 v81, v81, v71
	v_add_nc_u64_e32 v[86:87], v[66:67], v[68:69]
	v_add_nc_u64_e32 v[68:69], v[68:69], v[50:51]
	v_cmp_gt_i32_e32 vcc_lo, 8, v81
	flat_load_b64 v[84:85], v[84:85] th:TH_LOAD_NT
	s_or_b32 s10, vcc_lo, s10
	s_wait_loadcnt_dscnt 0x0
	flat_store_b64 v[86:87], v[84:85] th:TH_STORE_NT
	s_wait_xcnt 0x0
	s_and_not1_b32 exec_lo, exec_lo, s10
	s_cbranch_execnz .LBB2_495
.LBB2_496:                              ;   in Loop: Header=BB2_403 Depth=1
	s_or_b32 exec_lo, exec_lo, s19
	v_cmp_ne_u32_e64 s10, 0, v32
	s_and_saveexec_b32 s19, s2
	s_cbranch_execz .LBB2_515
.LBB2_497:                              ;   in Loop: Header=BB2_403 Depth=1
	s_and_saveexec_b32 s20, s3
	s_delay_alu instid0(SALU_CYCLE_1)
	s_xor_b32 s20, exec_lo, s20
	s_cbranch_execz .LBB2_512
; %bb.498:                              ;   in Loop: Header=BB2_403 Depth=1
	s_and_saveexec_b32 s21, s4
	s_cbranch_execz .LBB2_511
; %bb.499:                              ;   in Loop: Header=BB2_403 Depth=1
	s_mov_b32 s23, exec_lo
	s_mov_b32 s22, exec_lo
	v_mbcnt_lo_u32_b32 v32, s23, 0
	global_wb scope:SCOPE_DEV
	s_wait_storecnt 0x0
	s_wait_loadcnt_dscnt 0x0
	global_inv scope:SCOPE_DEV
	v_cmpx_eq_u32_e32 0, v32
	s_cbranch_execz .LBB2_501
; %bb.500:                              ;   in Loop: Header=BB2_403 Depth=1
	s_bcnt1_i32_b32 s23, s23
	s_delay_alu instid0(SALU_CYCLE_1)
	v_mov_b32_e32 v32, s23
	s_wait_loadcnt 0x0
	ds_add_u64 v0, v[32:33]
	s_trap 2
.LBB2_501:                              ;   in Loop: Header=BB2_403 Depth=1
	s_or_b32 exec_lo, exec_lo, s22
	s_trap 2
	ds_load_b64 v[64:65], v0
	s_wait_dscnt 0x0
	v_add_nc_u64_e32 v[10:11], v[10:11], v[28:29]
	s_mov_b32 s22, exec_lo
	s_delay_alu instid0(VALU_DEP_1)
	v_cmpx_lt_u64_e64 v[64:65], v[10:11]
	s_cbranch_execz .LBB2_510
; %bb.502:                              ;   in Loop: Header=BB2_403 Depth=1
	s_mov_b32 s23, 0
	s_mov_b32 s26, 0
                                        ; implicit-def: $sgpr24
                                        ; implicit-def: $sgpr25
	s_branch .LBB2_504
.LBB2_503:                              ;   in Loop: Header=BB2_504 Depth=2
	s_or_b32 exec_lo, exec_lo, s28
	s_delay_alu instid0(SALU_CYCLE_1) | instskip(NEXT) | instid1(SALU_CYCLE_1)
	s_and_b32 s27, exec_lo, s29
	s_or_b32 s23, s27, s23
	s_and_not1_b32 s24, s24, exec_lo
	s_and_b32 s27, s25, exec_lo
	s_delay_alu instid0(SALU_CYCLE_1)
	s_or_b32 s24, s24, s27
	s_and_not1_b32 exec_lo, exec_lo, s23
	s_cbranch_execz .LBB2_508
.LBB2_504:                              ;   Parent Loop BB2_403 Depth=1
                                        ; =>  This Inner Loop Header: Depth=2
	s_add_co_i32 s26, s26, 1
	s_delay_alu instid0(SALU_CYCLE_1) | instskip(SKIP_1) | instid1(SALU_CYCLE_1)
	s_cmp_lg_u32 s26, 0x2710
	s_cselect_b32 s27, -1, 0
	s_and_b32 vcc_lo, exec_lo, s27
	s_cbranch_vccz .LBB2_506
; %bb.505:                              ;   in Loop: Header=BB2_504 Depth=2
	s_mov_b32 s29, -1
	s_or_b32 s25, s25, exec_lo
	s_and_saveexec_b32 s28, s27
	s_cbranch_execz .LBB2_503
	s_branch .LBB2_507
.LBB2_506:                              ;   in Loop: Header=BB2_504 Depth=2
	s_trap 2
	ds_load_b64 v[64:65], v0
	s_and_not1_b32 s27, s27, exec_lo
	s_mov_b32 s26, 0
	s_wait_loadcnt_dscnt 0x0
	flat_load_b32 v32, v[64:65] scope:SCOPE_SYS
	s_wait_loadcnt_dscnt 0x0
	global_inv scope:SCOPE_SYS
	v_cmp_eq_u32_e32 vcc_lo, 0, v32
	s_and_b32 s28, vcc_lo, exec_lo
	s_delay_alu instid0(SALU_CYCLE_1)
	s_or_b32 s27, s27, s28
	s_mov_b32 s29, -1
	s_or_b32 s25, s25, exec_lo
	s_and_saveexec_b32 s28, s27
	s_cbranch_execz .LBB2_503
.LBB2_507:                              ;   in Loop: Header=BB2_504 Depth=2
	s_sleep 1
	s_trap 2
	ds_load_b64 v[64:65], v0
	s_wait_dscnt 0x0
	s_and_not1_b32 s25, s25, exec_lo
	v_cmp_ge_u64_e32 vcc_lo, v[64:65], v[10:11]
	s_or_not1_b32 s29, vcc_lo, exec_lo
	s_branch .LBB2_503
.LBB2_508:                              ;   in Loop: Header=BB2_403 Depth=1
	s_or_b32 exec_lo, exec_lo, s23
	s_and_saveexec_b32 s23, s24
	s_delay_alu instid0(SALU_CYCLE_1)
	s_xor_b32 s23, exec_lo, s23
	s_cbranch_execz .LBB2_510
; %bb.509:                              ;   in Loop: Header=BB2_403 Depth=1
	ds_store_b32 v0, v80
	s_trap 2
.LBB2_510:                              ;   in Loop: Header=BB2_403 Depth=1
	s_or_b32 exec_lo, exec_lo, s22
	;;#ASMSTART
	s_wakeup
	;;#ASMEND
.LBB2_511:                              ;   in Loop: Header=BB2_403 Depth=1
	s_or_b32 exec_lo, exec_lo, s21
.LBB2_512:                              ;   in Loop: Header=BB2_403 Depth=1
	s_and_not1_saveexec_b32 s20, s20
	s_cbranch_execz .LBB2_514
; %bb.513:                              ;   in Loop: Header=BB2_403 Depth=1
	global_wb scope:SCOPE_DEV
	s_wait_storecnt 0x0
	s_wait_loadcnt_dscnt 0x0
	global_inv scope:SCOPE_DEV
	s_barrier_signal -1
	s_barrier_wait -1
.LBB2_514:                              ;   in Loop: Header=BB2_403 Depth=1
	s_or_b32 exec_lo, exec_lo, s20
.LBB2_515:                              ;   in Loop: Header=BB2_403 Depth=1
	s_delay_alu instid0(SALU_CYCLE_1) | instskip(SKIP_1) | instid1(VALU_DEP_1)
	s_or_b32 exec_lo, exec_lo, s19
	v_and_b32_e32 v32, 16, v30
	v_cmp_ne_u32_e32 vcc_lo, 0, v32
	s_and_b32 s19, vcc_lo, s10
	s_delay_alu instid0(SALU_CYCLE_1)
	s_and_saveexec_b32 s10, s19
	s_cbranch_execz .LBB2_517
; %bb.516:                              ;   in Loop: Header=BB2_403 Depth=1
	global_wb scope:SCOPE_SYS
	s_wait_storecnt 0x0
	s_wait_loadcnt_dscnt 0x0
	global_inv scope:SCOPE_SYS
.LBB2_517:                              ;   in Loop: Header=BB2_403 Depth=1
	s_or_b32 exec_lo, exec_lo, s10
	s_delay_alu instid0(SALU_CYCLE_1)
	s_mov_b32 s10, exec_lo
	v_cmpx_ne_u32_e32 0, v32
	s_cbranch_execz .LBB2_521
; %bb.518:                              ;   in Loop: Header=BB2_403 Depth=1
	s_and_saveexec_b32 s19, s7
	s_cbranch_execz .LBB2_520
; %bb.519:                              ;   in Loop: Header=BB2_403 Depth=1
	global_wb scope:SCOPE_SYS
	s_wait_storecnt 0x0
	s_wait_loadcnt_dscnt 0x0
	flat_store_b32 v[26:27], v80 scope:SCOPE_SYS
.LBB2_520:                              ;   in Loop: Header=BB2_403 Depth=1
	s_wait_xcnt 0x0
	s_or_b32 exec_lo, exec_lo, s19
	v_add_nc_u64_e32 v[8:9], 1, v[8:9]
	global_wb scope:SCOPE_SYS
	s_wait_storecnt 0x0
	s_wait_loadcnt_dscnt 0x0
	flat_store_b64 v[18:19], v[8:9] scope:SCOPE_SYS
.LBB2_521:                              ;   in Loop: Header=BB2_403 Depth=1
	s_wait_xcnt 0x0
	s_or_b32 exec_lo, exec_lo, s10
	v_mov_b32_e32 v32, v55
.LBB2_522:                              ;   in Loop: Header=BB2_403 Depth=1
	s_or_b32 exec_lo, exec_lo, s18
	s_and_saveexec_b32 s18, s17
	s_cbranch_execz .LBB2_402
; %bb.523:                              ;   in Loop: Header=BB2_403 Depth=1
	s_delay_alu instid0(VALU_DEP_1) | instskip(SKIP_1) | instid1(VALU_DEP_1)
	v_dual_sub_nc_u32 v32, v54, v32 :: v_dual_bitop2_b32 v64, 8, v30 bitop3:0x40
	s_mov_b32 s17, exec_lo
	v_min_i32_e32 v54, v55, v32
	s_delay_alu instid0(VALU_DEP_2)
	v_cmpx_ne_u32_e32 0, v64
	s_cbranch_execz .LBB2_545
; %bb.524:                              ;   in Loop: Header=BB2_403 Depth=1
	s_wait_loadcnt 0x0
	v_add_nc_u64_e32 v[66:67], 8, v[24:25]
	v_add_nc_u64_e32 v[64:65], 1, v[8:9]
	s_mov_b32 s19, exec_lo
	s_delay_alu instid0(VALU_DEP_1)
	v_cmpx_lt_u64_e64 v[66:67], v[64:65]
	s_cbranch_execz .LBB2_536
; %bb.525:                              ;   in Loop: Header=BB2_403 Depth=1
	v_and_b32_e32 v9, 64, v30
	s_mov_b32 s20, 0
	s_mov_b32 s24, 0
                                        ; implicit-def: $sgpr21
                                        ; implicit-def: $sgpr22
                                        ; implicit-def: $sgpr23
	s_delay_alu instid0(VALU_DEP_1)
	v_cmp_eq_u32_e32 vcc_lo, 0, v9
	s_branch .LBB2_529
.LBB2_526:                              ;   in Loop: Header=BB2_529 Depth=2
	s_wait_loadcnt_dscnt 0x0
	v_add_nc_u64_e32 v[66:67], 8, v[24:25]
	s_or_b32 s27, s27, exec_lo
	s_delay_alu instid0(VALU_DEP_1)
	v_cmp_ge_u64_e64 s10, v[66:67], v[64:65]
	s_or_not1_b32 s26, s10, exec_lo
.LBB2_527:                              ;   in Loop: Header=BB2_529 Depth=2
	s_or_b32 exec_lo, exec_lo, s29
	s_delay_alu instid0(SALU_CYCLE_1)
	s_and_not1_b32 s10, s23, exec_lo
	s_and_b32 s23, s27, exec_lo
	s_and_not1_b32 s22, s22, exec_lo
	s_and_b32 s26, s26, exec_lo
	s_or_b32 s23, s10, s23
	s_or_b32 s22, s22, s26
.LBB2_528:                              ;   in Loop: Header=BB2_529 Depth=2
	s_or_b32 exec_lo, exec_lo, s25
	s_delay_alu instid0(SALU_CYCLE_1) | instskip(NEXT) | instid1(SALU_CYCLE_1)
	s_and_b32 s10, exec_lo, s22
	s_or_b32 s20, s10, s20
	s_and_not1_b32 s10, s21, exec_lo
	s_and_b32 s21, s23, exec_lo
	s_delay_alu instid0(SALU_CYCLE_1)
	s_or_b32 s21, s10, s21
	s_and_not1_b32 exec_lo, exec_lo, s20
	s_cbranch_execz .LBB2_533
.LBB2_529:                              ;   Parent Loop BB2_403 Depth=1
                                        ; =>  This Inner Loop Header: Depth=2
	s_sleep 1
	s_wait_loadcnt_dscnt 0x0
	flat_load_b64 v[24:25], v[18:19] scope:SCOPE_SYS
	s_or_b32 s23, s23, exec_lo
	s_or_b32 s22, s22, exec_lo
                                        ; implicit-def: $vgpr9
	s_wait_xcnt 0x0
	s_and_saveexec_b32 s25, vcc_lo
	s_cbranch_execz .LBB2_528
; %bb.530:                              ;   in Loop: Header=BB2_529 Depth=2
	s_cmp_lt_i32 s24, 0x270f
	s_mov_b32 s26, -1
	s_cselect_b32 s28, -1, 0
	s_cmp_gt_i32 s24, 0x270e
	s_cbranch_scc0 .LBB2_532
; %bb.531:                              ;   in Loop: Header=BB2_529 Depth=2
	s_trap 2
	ds_load_b64 v[66:67], v0
	s_and_not1_b32 s24, s28, exec_lo
	s_mov_b32 s27, 0
	s_wait_storecnt 0x0
	s_wait_loadcnt_dscnt 0x0
	flat_load_b32 v9, v[66:67] scope:SCOPE_SYS
	s_wait_loadcnt_dscnt 0x0
	global_inv scope:SCOPE_SYS
	v_cmp_eq_u32_e64 s10, 0, v9
	s_and_b32 s10, s10, exec_lo
	s_delay_alu instid0(SALU_CYCLE_1)
	s_or_b32 s28, s24, s10
	s_mov_b32 s24, 0
	s_and_saveexec_b32 s29, s28
	s_cbranch_execz .LBB2_527
	s_branch .LBB2_526
.LBB2_532:                              ;   in Loop: Header=BB2_529 Depth=2
	s_add_co_i32 s24, s24, 1
	s_mov_b32 s27, -1
                                        ; implicit-def: $vgpr9
	s_and_saveexec_b32 s29, s28
	s_cbranch_execz .LBB2_527
	s_branch .LBB2_526
.LBB2_533:                              ;   in Loop: Header=BB2_403 Depth=1
	s_or_b32 exec_lo, exec_lo, s20
	s_xor_b32 s10, s21, -1
	s_delay_alu instid0(SALU_CYCLE_1) | instskip(NEXT) | instid1(SALU_CYCLE_1)
	s_and_saveexec_b32 s20, s10
	s_xor_b32 s10, exec_lo, s20
	s_cbranch_execz .LBB2_535
; %bb.534:                              ;   in Loop: Header=BB2_403 Depth=1
	v_or_b32_e32 v30, 64, v30
	s_wait_storecnt 0x0
	s_wait_loadcnt_dscnt 0x0
	ds_store_b32 v0, v9
	s_trap 2
.LBB2_535:                              ;   in Loop: Header=BB2_403 Depth=1
	s_or_b32 exec_lo, exec_lo, s10
.LBB2_536:                              ;   in Loop: Header=BB2_403 Depth=1
	s_delay_alu instid0(SALU_CYCLE_1) | instskip(SKIP_4) | instid1(VALU_DEP_2)
	s_or_b32 exec_lo, exec_lo, s19
	v_and_b32_e32 v9, 0x100, v30
	v_and_b32_e32 v32, 7, v8
	s_mov_b32 s19, 0
	;;#ASMSTART
	s_wakeup
	;;#ASMEND
	v_cmp_ne_u32_e32 vcc_lo, 0, v9
                                        ; implicit-def: $vgpr8_vgpr9
	s_and_saveexec_b32 s10, vcc_lo
	s_delay_alu instid0(SALU_CYCLE_1)
	s_xor_b32 s10, exec_lo, s10
	s_cbranch_execz .LBB2_557
; %bb.537:                              ;   in Loop: Header=BB2_403 Depth=1
	v_mad_nc_u64_u32 v[66:67], v32, 24, v[6:7]
	v_ashrrev_i32_e32 v55, 31, v54
	s_mov_b32 s19, -1
	s_mov_b32 s20, exec_lo
	s_delay_alu instid0(VALU_DEP_1)
	v_lshlrev_b64_e32 v[8:9], 3, v[54:55]
	s_clause 0x1
	flat_load_b32 v68, v[66:67]
	flat_store_b64 v[66:67], v[8:9] offset:8
                                        ; implicit-def: $vgpr8_vgpr9
	s_wait_loadcnt_dscnt 0x1
	v_cmpx_eq_u32_e32 1, v68
	s_cbranch_execz .LBB2_539
; %bb.538:                              ;   in Loop: Header=BB2_403 Depth=1
	flat_load_b32 v8, v[66:67] offset:4 scope:SCOPE_SYS
	s_xor_b32 s19, exec_lo, -1
	s_wait_loadcnt_dscnt 0x0
	v_ashrrev_i32_e32 v9, 31, v8
	s_delay_alu instid0(VALU_DEP_1)
	v_lshrrev_b64 v[8:9], 3, v[8:9]
.LBB2_539:                              ;   in Loop: Header=BB2_403 Depth=1
	s_wait_xcnt 0x0
	s_or_b32 exec_lo, exec_lo, s20
	s_delay_alu instid0(SALU_CYCLE_1)
	s_and_b32 s19, s19, exec_lo
	s_and_not1_saveexec_b32 s10, s10
	s_cbranch_execnz .LBB2_558
.LBB2_540:                              ;   in Loop: Header=BB2_403 Depth=1
	s_or_b32 exec_lo, exec_lo, s10
	s_and_saveexec_b32 s10, s19
.LBB2_541:                              ;   in Loop: Header=BB2_403 Depth=1
	v_mul_u64_e32 v[8:9], v[32:33], v[20:21]
.LBB2_542:                              ;   in Loop: Header=BB2_403 Depth=1
	s_or_b32 exec_lo, exec_lo, s10
	v_and_b32_e32 v32, 0x2000, v30
	s_delay_alu instid0(VALU_DEP_2)
	v_lshl_add_u64 v[8:9], v[8:9], 3, v[22:23]
	s_mov_b32 s10, exec_lo
	ds_store_b64 v0, v[8:9] offset:784
	v_cmpx_ne_u32_e32 0, v32
	s_cbranch_execz .LBB2_544
; %bb.543:                              ;   in Loop: Header=BB2_403 Depth=1
	ds_load_b64 v[8:9], v0 offset:872
	s_wait_dscnt 0x0
	v_add_nc_u64_e32 v[8:9], 1, v[8:9]
	ds_store_b64 v0, v[8:9] offset:872
.LBB2_544:                              ;   in Loop: Header=BB2_403 Depth=1
	s_or_b32 exec_lo, exec_lo, s10
	v_mov_b64_e32 v[8:9], v[64:65]
.LBB2_545:                              ;   in Loop: Header=BB2_403 Depth=1
	s_or_b32 exec_lo, exec_lo, s17
	s_and_saveexec_b32 s10, s2
	s_cbranch_execz .LBB2_566
; %bb.546:                              ;   in Loop: Header=BB2_403 Depth=1
	s_and_saveexec_b32 s17, s3
	s_delay_alu instid0(SALU_CYCLE_1)
	s_xor_b32 s17, exec_lo, s17
	s_cbranch_execz .LBB2_563
; %bb.547:                              ;   in Loop: Header=BB2_403 Depth=1
	s_and_saveexec_b32 s19, s4
	s_cbranch_execz .LBB2_562
; %bb.548:                              ;   in Loop: Header=BB2_403 Depth=1
	s_mov_b32 s21, exec_lo
	s_mov_b32 s20, exec_lo
	v_mbcnt_lo_u32_b32 v32, s21, 0
	global_wb scope:SCOPE_DEV
	s_wait_storecnt 0x0
	s_wait_loadcnt_dscnt 0x0
	global_inv scope:SCOPE_DEV
	v_cmpx_eq_u32_e32 0, v32
	s_cbranch_execz .LBB2_550
; %bb.549:                              ;   in Loop: Header=BB2_403 Depth=1
	s_bcnt1_i32_b32 s21, s21
	s_delay_alu instid0(SALU_CYCLE_1)
	v_mov_b32_e32 v32, s21
	s_wait_loadcnt 0x0
	ds_add_u64 v0, v[32:33]
	s_trap 2
.LBB2_550:                              ;   in Loop: Header=BB2_403 Depth=1
	s_or_b32 exec_lo, exec_lo, s20
	s_trap 2
	ds_load_b64 v[64:65], v0
	s_wait_dscnt 0x0
	v_add_nc_u64_e32 v[10:11], v[10:11], v[28:29]
	s_mov_b32 s20, exec_lo
	s_delay_alu instid0(VALU_DEP_1)
	v_cmpx_lt_u64_e64 v[64:65], v[10:11]
	s_cbranch_execz .LBB2_561
; %bb.551:                              ;   in Loop: Header=BB2_403 Depth=1
	s_mov_b32 s21, 0
	s_mov_b32 s24, 0
                                        ; implicit-def: $sgpr22
                                        ; implicit-def: $sgpr23
	s_branch .LBB2_553
.LBB2_552:                              ;   in Loop: Header=BB2_553 Depth=2
	s_or_b32 exec_lo, exec_lo, s26
	s_delay_alu instid0(SALU_CYCLE_1) | instskip(NEXT) | instid1(SALU_CYCLE_1)
	s_and_b32 s25, exec_lo, s27
	s_or_b32 s21, s25, s21
	s_and_not1_b32 s22, s22, exec_lo
	s_and_b32 s25, s23, exec_lo
	s_delay_alu instid0(SALU_CYCLE_1)
	s_or_b32 s22, s22, s25
	s_and_not1_b32 exec_lo, exec_lo, s21
	s_cbranch_execz .LBB2_559
.LBB2_553:                              ;   Parent Loop BB2_403 Depth=1
                                        ; =>  This Inner Loop Header: Depth=2
	s_add_co_i32 s24, s24, 1
	s_delay_alu instid0(SALU_CYCLE_1) | instskip(SKIP_1) | instid1(SALU_CYCLE_1)
	s_cmp_lg_u32 s24, 0x2710
	s_cselect_b32 s25, -1, 0
	s_and_b32 vcc_lo, exec_lo, s25
	s_cbranch_vccz .LBB2_555
; %bb.554:                              ;   in Loop: Header=BB2_553 Depth=2
	s_mov_b32 s27, -1
	s_or_b32 s23, s23, exec_lo
	s_and_saveexec_b32 s26, s25
	s_cbranch_execz .LBB2_552
	s_branch .LBB2_556
.LBB2_555:                              ;   in Loop: Header=BB2_553 Depth=2
	s_trap 2
	ds_load_b64 v[64:65], v0
	s_and_not1_b32 s25, s25, exec_lo
	s_mov_b32 s24, 0
	s_wait_loadcnt_dscnt 0x0
	flat_load_b32 v32, v[64:65] scope:SCOPE_SYS
	s_wait_loadcnt_dscnt 0x0
	global_inv scope:SCOPE_SYS
	v_cmp_eq_u32_e32 vcc_lo, 0, v32
	s_and_b32 s26, vcc_lo, exec_lo
	s_delay_alu instid0(SALU_CYCLE_1)
	s_or_b32 s25, s25, s26
	s_mov_b32 s27, -1
	s_or_b32 s23, s23, exec_lo
	s_and_saveexec_b32 s26, s25
	s_cbranch_execz .LBB2_552
.LBB2_556:                              ;   in Loop: Header=BB2_553 Depth=2
	s_sleep 1
	s_trap 2
	ds_load_b64 v[64:65], v0
	s_wait_dscnt 0x0
	s_and_not1_b32 s23, s23, exec_lo
	v_cmp_ge_u64_e32 vcc_lo, v[64:65], v[10:11]
	s_or_not1_b32 s27, vcc_lo, exec_lo
	s_branch .LBB2_552
.LBB2_557:                              ;   in Loop: Header=BB2_403 Depth=1
	s_and_not1_saveexec_b32 s10, s10
	s_cbranch_execz .LBB2_540
.LBB2_558:                              ;   in Loop: Header=BB2_403 Depth=1
	s_or_b32 s19, s19, exec_lo
	s_or_b32 exec_lo, exec_lo, s10
	s_and_saveexec_b32 s10, s19
	s_cbranch_execnz .LBB2_541
	s_branch .LBB2_542
.LBB2_559:                              ;   in Loop: Header=BB2_403 Depth=1
	s_or_b32 exec_lo, exec_lo, s21
	s_and_saveexec_b32 s21, s22
	s_delay_alu instid0(SALU_CYCLE_1)
	s_xor_b32 s21, exec_lo, s21
	s_cbranch_execz .LBB2_561
; %bb.560:                              ;   in Loop: Header=BB2_403 Depth=1
	ds_store_b32 v0, v80
	s_trap 2
.LBB2_561:                              ;   in Loop: Header=BB2_403 Depth=1
	s_or_b32 exec_lo, exec_lo, s20
	;;#ASMSTART
	s_wakeup
	;;#ASMEND
.LBB2_562:                              ;   in Loop: Header=BB2_403 Depth=1
	s_or_b32 exec_lo, exec_lo, s19
.LBB2_563:                              ;   in Loop: Header=BB2_403 Depth=1
	s_and_not1_saveexec_b32 s17, s17
	s_cbranch_execz .LBB2_565
; %bb.564:                              ;   in Loop: Header=BB2_403 Depth=1
	global_wb scope:SCOPE_DEV
	s_wait_storecnt 0x0
	s_wait_loadcnt_dscnt 0x0
	global_inv scope:SCOPE_DEV
	s_barrier_signal -1
	s_barrier_wait -1
.LBB2_565:                              ;   in Loop: Header=BB2_403 Depth=1
	s_or_b32 exec_lo, exec_lo, s17
.LBB2_566:                              ;   in Loop: Header=BB2_403 Depth=1
	s_delay_alu instid0(SALU_CYCLE_1)
	s_or_b32 exec_lo, exec_lo, s10
	s_trap 2
	ds_load_b32 v32, v0
	v_cmp_lt_i32_e32 vcc_lo, 0, v54
	s_wait_dscnt 0x0
	v_readfirstlane_b32 s10, v32
	v_and_b32_e32 v32, 16, v30
	s_cmp_eq_u32 s10, 0
	s_delay_alu instid0(VALU_DEP_1) | instskip(SKIP_1) | instid1(SALU_CYCLE_1)
	v_cmp_ne_u32_e64 s10, 0, v32
	s_cselect_b32 s17, -1, 0
	s_and_b32 s17, vcc_lo, s17
	s_delay_alu instid0(SALU_CYCLE_1) | instskip(NEXT) | instid1(SALU_CYCLE_1)
	s_and_b32 s17, s10, s17
	s_and_saveexec_b32 s10, s17
	s_cbranch_execz .LBB2_568
; %bb.567:                              ;   in Loop: Header=BB2_403 Depth=1
	global_wb scope:SCOPE_SYS
	s_wait_loadcnt 0x0
	s_wait_storecnt 0x0
	global_inv scope:SCOPE_SYS
.LBB2_568:                              ;   in Loop: Header=BB2_403 Depth=1
	s_or_b32 exec_lo, exec_lo, s10
	s_delay_alu instid0(SALU_CYCLE_1)
	s_mov_b32 s10, exec_lo
	v_cmpx_ne_u32_e32 0, v32
	s_cbranch_execz .LBB2_401
; %bb.569:                              ;   in Loop: Header=BB2_403 Depth=1
	s_and_saveexec_b32 s17, s7
	s_cbranch_execz .LBB2_400
; %bb.570:                              ;   in Loop: Header=BB2_403 Depth=1
	global_wb scope:SCOPE_SYS
	s_wait_loadcnt 0x0
	s_wait_storecnt 0x0
	flat_store_b32 v[26:27], v80 scope:SCOPE_SYS
	s_branch .LBB2_400
.LBB2_571:
	s_or_b32 exec_lo, exec_lo, s12
.LBB2_572:
	s_delay_alu instid0(SALU_CYCLE_1)
	s_or_b32 exec_lo, exec_lo, s14
.LBB2_573:
	s_delay_alu instid0(SALU_CYCLE_1) | instskip(SKIP_2) | instid1(VALU_DEP_1)
	s_or_b32 exec_lo, exec_lo, s13
	v_and_b32_e32 v0, 0x800, v30
	s_mov_b32 s1, exec_lo
	v_cmpx_eq_u32_e32 0, v0
	s_cbranch_execz .LBB2_606
; %bb.574:
	v_and_b32_e32 v0, 48, v30
	s_mov_b32 s0, exec_lo
	s_delay_alu instid0(VALU_DEP_1)
	v_cmpx_ne_u32_e32 0, v0
	s_cbranch_execz .LBB2_576
; %bb.575:
	s_wait_dscnt 0x0
	flat_store_b64 v[16:17], v[8:9] offset:104
.LBB2_576:
	s_wait_xcnt 0x0
	s_or_b32 exec_lo, exec_lo, s0
	v_and_b32_e32 v0, 0x88, v30
	s_mov_b32 s2, exec_lo
	s_delay_alu instid0(VALU_DEP_1)
	v_cmpx_eq_u32_e32 0x88, v0
	s_cbranch_execz .LBB2_586
; %bb.577:
	s_wait_dscnt 0x0
	v_add_nc_u32_e32 v0, -1, v8
	s_mov_b32 s3, 0
	s_delay_alu instid0(VALU_DEP_1) | instskip(NEXT) | instid1(VALU_DEP_1)
	v_and_b32_e32 v0, 7, v0
	v_mad_nc_u64_u32 v[4:5], v0, 24, v[6:7]
	v_and_b32_e32 v0, 64, v30
	s_delay_alu instid0(VALU_DEP_1)
	v_cmp_eq_u32_e64 s0, 0, v0
	flat_load_b64 v[6:7], v[4:5] offset:8 scope:SCOPE_SYS
	s_wait_loadcnt_dscnt 0x0
	v_cmp_ne_u64_e32 vcc_lo, -1, v[6:7]
	s_and_b32 s0, vcc_lo, s0
	s_wait_xcnt 0x0
	s_and_b32 exec_lo, exec_lo, s0
	s_cbranch_execz .LBB2_586
; %bb.578:
	s_mov_b32 s5, 0
                                        ; implicit-def: $sgpr0
                                        ; implicit-def: $sgpr4
	s_branch .LBB2_581
.LBB2_579:                              ;   in Loop: Header=BB2_581 Depth=1
	flat_load_b64 v[6:7], v[4:5] offset:8 scope:SCOPE_SYS
	s_wait_loadcnt 0x0
	s_and_not1_b32 s4, s4, exec_lo
	s_wait_dscnt 0x0
	v_cmp_eq_u64_e32 vcc_lo, -1, v[6:7]
	s_or_not1_b32 s7, vcc_lo, exec_lo
.LBB2_580:                              ;   in Loop: Header=BB2_581 Depth=1
	s_wait_xcnt 0x0
	s_or_b32 exec_lo, exec_lo, s10
	s_delay_alu instid0(SALU_CYCLE_1) | instskip(NEXT) | instid1(SALU_CYCLE_1)
	s_and_b32 s6, exec_lo, s7
	s_or_b32 s3, s6, s3
	s_and_not1_b32 s0, s0, exec_lo
	s_and_b32 s6, s4, exec_lo
	s_delay_alu instid0(SALU_CYCLE_1)
	s_or_b32 s0, s0, s6
	s_and_not1_b32 exec_lo, exec_lo, s3
	s_cbranch_execz .LBB2_584
.LBB2_581:                              ; =>This Inner Loop Header: Depth=1
	s_cmp_lt_i32 s5, 0x270f
	s_cselect_b32 s6, -1, 0
	s_delay_alu instid0(SALU_CYCLE_1)
	s_and_b32 vcc_lo, exec_lo, s6
	s_cbranch_vccnz .LBB2_583
; %bb.582:                              ;   in Loop: Header=BB2_581 Depth=1
	s_trap 2
	ds_load_b64 v[6:7], v0
	s_and_not1_b32 s6, s6, exec_lo
	s_mov_b32 s5, 0
	s_wait_storecnt_dscnt 0x0
	flat_load_b32 v0, v[6:7] scope:SCOPE_SYS
	s_wait_loadcnt_dscnt 0x0
	global_inv scope:SCOPE_SYS
	v_cmp_eq_u32_e32 vcc_lo, 0, v0
	s_and_b32 s7, vcc_lo, exec_lo
	s_delay_alu instid0(SALU_CYCLE_1)
	s_or_b32 s6, s6, s7
	s_mov_b32 s7, -1
	s_or_b32 s4, s4, exec_lo
	s_wait_xcnt 0x0
	s_and_saveexec_b32 s10, s6
	s_cbranch_execz .LBB2_580
	s_branch .LBB2_579
.LBB2_583:                              ;   in Loop: Header=BB2_581 Depth=1
	s_add_co_i32 s5, s5, 1
                                        ; implicit-def: $vgpr0
	s_mov_b32 s7, -1
	s_or_b32 s4, s4, exec_lo
	s_and_saveexec_b32 s10, s6
	s_cbranch_execz .LBB2_580
	s_branch .LBB2_579
.LBB2_584:
	s_or_b32 exec_lo, exec_lo, s3
	s_and_saveexec_b32 s3, s0
	s_delay_alu instid0(SALU_CYCLE_1)
	s_xor_b32 s3, exec_lo, s3
	s_cbranch_execz .LBB2_586
; %bb.585:
	s_wait_loadcnt 0x0
	s_wait_storecnt 0x0
	ds_store_b32 v0, v0
	s_trap 2
.LBB2_586:
	s_or_b32 exec_lo, exec_lo, s2
	v_and_b32_e32 v0, 0x2000, v30
	s_mov_b32 s0, exec_lo
	s_delay_alu instid0(VALU_DEP_1)
	v_cmpx_ne_u32_e32 0, v0
	s_cbranch_execz .LBB2_588
; %bb.587:
	s_trap 2
	ds_load_b64 v[4:5], v0
	s_wait_dscnt 0x0
	flat_store_b64 v[2:3], v[4:5] offset:16
.LBB2_588:
	s_wait_xcnt 0x0
	s_or_b32 exec_lo, exec_lo, s0
	v_cmp_ne_u32_e32 vcc_lo, 32, v1
	s_and_b32 exec_lo, exec_lo, vcc_lo
	s_cbranch_execz .LBB2_606
; %bb.589:
	s_mov_b32 s0, exec_lo
	v_cmpx_ne_u32_e64 v1, v82
	s_xor_b32 s0, exec_lo, s0
	s_cbranch_execz .LBB2_604
; %bb.590:
	v_and_b32_e32 v0, 31, v31
	s_mov_b32 s2, exec_lo
	s_delay_alu instid0(VALU_DEP_1)
	v_cmpx_eq_u32_e32 0, v0
	s_cbranch_execz .LBB2_603
; %bb.591:
	s_mov_b32 s4, exec_lo
	s_mov_b32 s3, exec_lo
	v_mbcnt_lo_u32_b32 v0, s4, 0
	global_wb scope:SCOPE_DEV
	s_wait_storecnt 0x0
	s_wait_loadcnt_dscnt 0x0
	global_inv scope:SCOPE_DEV
	v_cmpx_eq_u32_e32 0, v0
	s_cbranch_execz .LBB2_593
; %bb.592:
	s_bcnt1_i32_b32 s4, s4
	s_delay_alu instid0(SALU_CYCLE_1)
	v_dual_mov_b32 v3, 0 :: v_dual_mov_b32 v2, s4
	s_wait_loadcnt 0x0
	ds_add_u64 v0, v[2:3]
	s_trap 2
.LBB2_593:
	s_or_b32 exec_lo, exec_lo, s3
	s_trap 2
	ds_load_b64 v[2:3], v0
	s_wait_dscnt 0x0
	v_dual_mov_b32 v1, 0 :: v_dual_lshrrev_b32 v0, 5, v1
	s_mov_b32 s3, exec_lo
	s_delay_alu instid0(VALU_DEP_1) | instskip(NEXT) | instid1(VALU_DEP_1)
	v_add_nc_u64_e32 v[0:1], v[10:11], v[0:1]
	v_cmpx_lt_u64_e64 v[2:3], v[0:1]
	s_cbranch_execz .LBB2_602
; %bb.594:
	s_mov_b32 s4, 0
	s_mov_b32 s7, 0
                                        ; implicit-def: $sgpr5
                                        ; implicit-def: $sgpr6
	s_branch .LBB2_596
.LBB2_595:                              ;   in Loop: Header=BB2_596 Depth=1
	s_or_b32 exec_lo, exec_lo, s12
	s_delay_alu instid0(SALU_CYCLE_1) | instskip(NEXT) | instid1(SALU_CYCLE_1)
	s_and_b32 s10, exec_lo, s13
	s_or_b32 s4, s10, s4
	s_and_not1_b32 s5, s5, exec_lo
	s_and_b32 s10, s6, exec_lo
	s_delay_alu instid0(SALU_CYCLE_1)
	s_or_b32 s5, s5, s10
	s_and_not1_b32 exec_lo, exec_lo, s4
	s_cbranch_execz .LBB2_600
.LBB2_596:                              ; =>This Inner Loop Header: Depth=1
	s_add_co_i32 s7, s7, 1
	s_delay_alu instid0(SALU_CYCLE_1) | instskip(SKIP_1) | instid1(SALU_CYCLE_1)
	s_cmp_lg_u32 s7, 0x2710
	s_cselect_b32 s10, -1, 0
	s_and_b32 vcc_lo, exec_lo, s10
	s_cbranch_vccz .LBB2_598
; %bb.597:                              ;   in Loop: Header=BB2_596 Depth=1
	s_mov_b32 s13, -1
	s_or_b32 s6, s6, exec_lo
	s_and_saveexec_b32 s12, s10
	s_cbranch_execz .LBB2_595
	s_branch .LBB2_599
.LBB2_598:                              ;   in Loop: Header=BB2_596 Depth=1
	s_trap 2
	ds_load_b64 v[2:3], v0
	s_and_not1_b32 s10, s10, exec_lo
	s_mov_b32 s7, 0
	s_wait_loadcnt_dscnt 0x0
	flat_load_b32 v2, v[2:3] scope:SCOPE_SYS
	s_wait_loadcnt_dscnt 0x0
	global_inv scope:SCOPE_SYS
	v_cmp_eq_u32_e32 vcc_lo, 0, v2
	s_and_b32 s12, vcc_lo, exec_lo
	s_delay_alu instid0(SALU_CYCLE_1)
	s_or_b32 s10, s10, s12
	s_mov_b32 s13, -1
	s_or_b32 s6, s6, exec_lo
	s_and_saveexec_b32 s12, s10
	s_cbranch_execz .LBB2_595
.LBB2_599:                              ;   in Loop: Header=BB2_596 Depth=1
	s_sleep 1
	s_trap 2
	ds_load_b64 v[2:3], v0
	s_wait_dscnt 0x0
	s_and_not1_b32 s6, s6, exec_lo
	v_cmp_ge_u64_e32 vcc_lo, v[2:3], v[0:1]
	s_or_not1_b32 s13, vcc_lo, exec_lo
	s_branch .LBB2_595
.LBB2_600:
	s_or_b32 exec_lo, exec_lo, s4
	s_and_saveexec_b32 s4, s5
	s_delay_alu instid0(SALU_CYCLE_1)
	s_xor_b32 s4, exec_lo, s4
	s_cbranch_execz .LBB2_602
; %bb.601:
	v_mov_b32_e32 v0, 1
	ds_store_b32 v0, v0
	s_trap 2
.LBB2_602:
	s_or_b32 exec_lo, exec_lo, s3
	;;#ASMSTART
	s_wakeup
	;;#ASMEND
.LBB2_603:
	s_or_b32 exec_lo, exec_lo, s2
.LBB2_604:
	s_and_not1_saveexec_b32 s0, s0
	s_cbranch_execz .LBB2_606
; %bb.605:
	global_wb scope:SCOPE_DEV
	s_wait_storecnt 0x0
	s_wait_loadcnt_dscnt 0x0
	global_inv scope:SCOPE_DEV
	s_barrier_signal -1
	s_barrier_wait -1
.LBB2_606:
	s_or_b32 exec_lo, exec_lo, s1
.LBB2_607:
	s_and_not1_saveexec_b32 s21, s11
	s_cbranch_execz .LBB2_609
; %bb.608:
	s_get_pc_i64 s[0:1]
	s_add_nc_u64 s[0:1], s[0:1], __PRETTY_FUNCTION__._ZN10PrimitivesIm8FuncProdImE12FanSymmetricILi1EELi0E11ProtoSimpleILi1ELi1ELi0ELi1ELi0ELi0EELi0ELb0ELi0ELi0ELi0EEC2EiiPKiS8_PKvPvmhhhP15ncclDevWorkCollP14ncclDevWorkP2pii@rel64+4
	s_get_pc_i64 s[2:3]
	s_add_nc_u64 s[2:3], s[2:3], __assert_fail@rel64+4
	v_dual_mov_b32 v0, s0 :: v_dual_mov_b32 v1, s1
	s_swap_pc_i64 s[30:31], s[2:3]
	; divergent unreachable
.LBB2_609:
	s_or_b32 exec_lo, exec_lo, s21
	scratch_load_b32 v40, off, s33          ; 4-byte Folded Reload
	v_readlane_b32 s30, v41, 0
	v_readlane_b32 s31, v41, 1
	s_mov_b32 s32, s33
	s_wait_xcnt 0x0
	s_or_saveexec_b32 s0, -1
	scratch_load_b32 v41, off, s33 offset:4 ; 4-byte Folded Reload
	s_wait_xcnt 0x0
	s_mov_b32 exec_lo, s0
	s_mov_b32 s33, s43
	s_wait_loadcnt_dscnt 0x0
	s_set_pc_i64 s[30:31]
.Lfunc_end2:
	.size	_ZN12_GLOBAL__N_17runRingIm8FuncProdImE11ProtoSimpleILi1ELi1ELi0ELi1ELi0ELi0EELi0ELi1ELi0EEEviiP15ncclDevWorkColl, .Lfunc_end2-_ZN12_GLOBAL__N_17runRingIm8FuncProdImE11ProtoSimpleILi1ELi1ELi0ELi1ELi0ELi0EELi0ELi1ELi0EEEviiP15ncclDevWorkColl
                                        ; -- End function
	.set .L_ZN12_GLOBAL__N_17runRingIm8FuncProdImE11ProtoSimpleILi1ELi1ELi0ELi1ELi0ELi0EELi0ELi1ELi0EEEviiP15ncclDevWorkColl.num_vgpr, max(120, .L__assert_fail.num_vgpr)
	.set .L_ZN12_GLOBAL__N_17runRingIm8FuncProdImE11ProtoSimpleILi1ELi1ELi0ELi1ELi0ELi0EELi0ELi1ELi0EEEviiP15ncclDevWorkColl.num_agpr, max(0, .L__assert_fail.num_agpr)
	.set .L_ZN12_GLOBAL__N_17runRingIm8FuncProdImE11ProtoSimpleILi1ELi1ELi0ELi1ELi0ELi0EELi0ELi1ELi0EEEviiP15ncclDevWorkColl.numbered_sgpr, max(44, .L__assert_fail.numbered_sgpr)
	.set .L_ZN12_GLOBAL__N_17runRingIm8FuncProdImE11ProtoSimpleILi1ELi1ELi0ELi1ELi0ELi0EELi0ELi1ELi0EEEviiP15ncclDevWorkColl.num_named_barrier, max(0, .L__assert_fail.num_named_barrier)
	.set .L_ZN12_GLOBAL__N_17runRingIm8FuncProdImE11ProtoSimpleILi1ELi1ELi0ELi1ELi0ELi0EELi0ELi1ELi0EEEviiP15ncclDevWorkColl.private_seg_size, 16+max(.L__assert_fail.private_seg_size)
	.set .L_ZN12_GLOBAL__N_17runRingIm8FuncProdImE11ProtoSimpleILi1ELi1ELi0ELi1ELi0ELi0EELi0ELi1ELi0EEEviiP15ncclDevWorkColl.uses_vcc, or(1, .L__assert_fail.uses_vcc)
	.set .L_ZN12_GLOBAL__N_17runRingIm8FuncProdImE11ProtoSimpleILi1ELi1ELi0ELi1ELi0ELi0EELi0ELi1ELi0EEEviiP15ncclDevWorkColl.uses_flat_scratch, or(1, .L__assert_fail.uses_flat_scratch)
	.set .L_ZN12_GLOBAL__N_17runRingIm8FuncProdImE11ProtoSimpleILi1ELi1ELi0ELi1ELi0ELi0EELi0ELi1ELi0EEEviiP15ncclDevWorkColl.has_dyn_sized_stack, or(0, .L__assert_fail.has_dyn_sized_stack)
	.set .L_ZN12_GLOBAL__N_17runRingIm8FuncProdImE11ProtoSimpleILi1ELi1ELi0ELi1ELi0ELi0EELi0ELi1ELi0EEEviiP15ncclDevWorkColl.has_recursion, or(1, .L__assert_fail.has_recursion)
	.set .L_ZN12_GLOBAL__N_17runRingIm8FuncProdImE11ProtoSimpleILi1ELi1ELi0ELi1ELi0ELi0EELi0ELi1ELi0EEEviiP15ncclDevWorkColl.has_indirect_call, or(0, .L__assert_fail.has_indirect_call)
	.section	.AMDGPU.csdata,"",@progbits
; Function info:
; codeLenInByte = 20252
; TotalNumSgprs: 46
; NumVgprs: 120
; ScratchSize: 80
; MemoryBound: 1
	.text
	.p2align	2                               ; -- Begin function _Z45ncclDevFunc_Reduce_RING_SIMPLE_Prod_u64_0_0_1v
	.type	_Z45ncclDevFunc_Reduce_RING_SIMPLE_Prod_u64_0_0_1v,@function
_Z45ncclDevFunc_Reduce_RING_SIMPLE_Prod_u64_0_0_1v: ; @_Z45ncclDevFunc_Reduce_RING_SIMPLE_Prod_u64_0_0_1v
; %bb.0:
	s_wait_loadcnt_dscnt 0x0
	s_wait_kmcnt 0x0
	s_mov_b32 s59, s33
	s_mov_b32 s33, s32
	s_or_saveexec_b32 s0, -1
	scratch_store_b32 off, v43, s33 offset:12 ; 4-byte Folded Spill
	s_wait_xcnt 0x0
	s_mov_b32 exec_lo, s0
	s_add_co_i32 s32, s32, 32
	s_clause 0x2
	scratch_store_b32 off, v40, s33 offset:8
	; meta instruction
	scratch_store_b32 off, v41, s33 offset:4
	; meta instruction
	scratch_store_b32 off, v42, s33
	v_writelane_b32 v43, s30, 0
	v_writelane_b32 v43, s31, 1
	s_trap 2
	ds_load_b32 v0, v0
	s_wait_xcnt 0x2
	v_mov_b32_e32 v40, v31
	s_wait_dscnt 0x0
	v_cmp_gt_i32_e32 vcc_lo, 1, v0
	s_cbranch_vccnz .LBB3_8
; %bb.1:
	s_wait_xcnt 0x0
	v_and_b32_e32 v42, 0x3ff, v40
	s_mov_b32 s46, s12
	s_mov_b64 s[44:45], s[8:9]
	s_mov_b32 s47, 0
	s_get_pc_i64 s[56:57]
	s_add_nc_u64 s[56:57], s[56:57], _ZN12_GLOBAL__N_17runRingIm8FuncProdImE11ProtoSimpleILi1ELi1ELi0ELi1ELi0ELi0EELi0ELi1ELi0EEEviiP15ncclDevWorkColl@rel64+4
	s_branch .LBB3_3
.LBB3_2:                                ;   in Loop: Header=BB3_3 Depth=1
	s_or_b32 exec_lo, exec_lo, s58
	s_trap 2
	ds_load_b32 v0, v0
	s_add_co_i32 s47, s47, 1
	s_wait_dscnt 0x0
	v_cmp_lt_i32_e32 vcc_lo, s47, v0
	s_cbranch_vccz .LBB3_8
.LBB3_3:                                ; =>This Inner Loop Header: Depth=1
	s_trap 2
	ds_load_b32 v0, v0
	s_cmp_eq_u32 s47, 0
	s_cbranch_scc1 .LBB3_6
; %bb.4:                                ;   in Loop: Header=BB3_3 Depth=1
	s_trap 2
	s_wait_dscnt 0x0
	ds_load_b32 v1, v0
	s_wait_dscnt 0x0
	v_xor_b32_e32 v1, v1, v0
	s_delay_alu instid0(VALU_DEP_1) | instskip(NEXT) | instid1(VALU_DEP_1)
	v_and_b32_e32 v1, 0xff0000, v1
	v_cmp_eq_u32_e32 vcc_lo, 0, v1
	s_cbranch_vccnz .LBB3_6
; %bb.5:                                ;   in Loop: Header=BB3_3 Depth=1
	s_wait_storecnt 0x0
	s_barrier_signal -1
	s_barrier_wait -1
	ds_load_b32 v0, v0
.LBB3_6:                                ;   in Loop: Header=BB3_3 Depth=1
	s_wait_dscnt 0x0
	v_lshrrev_b32_e32 v0, 11, v0
	s_mov_b32 s58, exec_lo
	s_delay_alu instid0(VALU_DEP_1) | instskip(NEXT) | instid1(VALU_DEP_1)
	v_and_b32_e32 v1, 0x1fe0, v0
	v_cmpx_lt_u32_e64 v42, v1
	s_cbranch_execz .LBB3_2
; %bb.7:                                ;   in Loop: Header=BB3_3 Depth=1
	s_mov_b64 s[0:1], src_shared_base
	v_dual_mov_b32 v31, v40 :: v_dual_mov_b32 v0, v42
	v_mov_b32_e32 v3, s1
	s_mov_b64 s[8:9], s[44:45]
	s_mov_b32 s12, s46
	s_swap_pc_i64 s[30:31], s[56:57]
	s_branch .LBB3_2
.LBB3_8:
	s_clause 0x2
	scratch_load_b32 v42, off, s33
	scratch_load_b32 v41, off, s33 offset:4
	scratch_load_b32 v40, off, s33 offset:8
	v_readlane_b32 s30, v43, 0
	v_readlane_b32 s31, v43, 1
	s_mov_b32 s32, s33
	s_wait_xcnt 0x0
	s_or_saveexec_b32 s0, -1
	scratch_load_b32 v43, off, s33 offset:12 ; 4-byte Folded Reload
	s_wait_xcnt 0x0
	s_mov_b32 exec_lo, s0
	s_mov_b32 s33, s59
	s_wait_loadcnt 0x0
	s_set_pc_i64 s[30:31]
.Lfunc_end3:
	.size	_Z45ncclDevFunc_Reduce_RING_SIMPLE_Prod_u64_0_0_1v, .Lfunc_end3-_Z45ncclDevFunc_Reduce_RING_SIMPLE_Prod_u64_0_0_1v
                                        ; -- End function
	.set .L_Z45ncclDevFunc_Reduce_RING_SIMPLE_Prod_u64_0_0_1v.num_vgpr, max(44, .L_ZN12_GLOBAL__N_17runRingIm8FuncProdImE11ProtoSimpleILi1ELi1ELi0ELi1ELi0ELi0EELi0ELi1ELi0EEEviiP15ncclDevWorkColl.num_vgpr)
	.set .L_Z45ncclDevFunc_Reduce_RING_SIMPLE_Prod_u64_0_0_1v.num_agpr, max(0, .L_ZN12_GLOBAL__N_17runRingIm8FuncProdImE11ProtoSimpleILi1ELi1ELi0ELi1ELi0ELi0EELi0ELi1ELi0EEEviiP15ncclDevWorkColl.num_agpr)
	.set .L_Z45ncclDevFunc_Reduce_RING_SIMPLE_Prod_u64_0_0_1v.numbered_sgpr, max(60, .L_ZN12_GLOBAL__N_17runRingIm8FuncProdImE11ProtoSimpleILi1ELi1ELi0ELi1ELi0ELi0EELi0ELi1ELi0EEEviiP15ncclDevWorkColl.numbered_sgpr)
	.set .L_Z45ncclDevFunc_Reduce_RING_SIMPLE_Prod_u64_0_0_1v.num_named_barrier, max(0, .L_ZN12_GLOBAL__N_17runRingIm8FuncProdImE11ProtoSimpleILi1ELi1ELi0ELi1ELi0ELi0EELi0ELi1ELi0EEEviiP15ncclDevWorkColl.num_named_barrier)
	.set .L_Z45ncclDevFunc_Reduce_RING_SIMPLE_Prod_u64_0_0_1v.private_seg_size, 32+max(.L_ZN12_GLOBAL__N_17runRingIm8FuncProdImE11ProtoSimpleILi1ELi1ELi0ELi1ELi0ELi0EELi0ELi1ELi0EEEviiP15ncclDevWorkColl.private_seg_size)
	.set .L_Z45ncclDevFunc_Reduce_RING_SIMPLE_Prod_u64_0_0_1v.uses_vcc, or(1, .L_ZN12_GLOBAL__N_17runRingIm8FuncProdImE11ProtoSimpleILi1ELi1ELi0ELi1ELi0ELi0EELi0ELi1ELi0EEEviiP15ncclDevWorkColl.uses_vcc)
	.set .L_Z45ncclDevFunc_Reduce_RING_SIMPLE_Prod_u64_0_0_1v.uses_flat_scratch, or(1, .L_ZN12_GLOBAL__N_17runRingIm8FuncProdImE11ProtoSimpleILi1ELi1ELi0ELi1ELi0ELi0EELi0ELi1ELi0EEEviiP15ncclDevWorkColl.uses_flat_scratch)
	.set .L_Z45ncclDevFunc_Reduce_RING_SIMPLE_Prod_u64_0_0_1v.has_dyn_sized_stack, or(0, .L_ZN12_GLOBAL__N_17runRingIm8FuncProdImE11ProtoSimpleILi1ELi1ELi0ELi1ELi0ELi0EELi0ELi1ELi0EEEviiP15ncclDevWorkColl.has_dyn_sized_stack)
	.set .L_Z45ncclDevFunc_Reduce_RING_SIMPLE_Prod_u64_0_0_1v.has_recursion, or(1, .L_ZN12_GLOBAL__N_17runRingIm8FuncProdImE11ProtoSimpleILi1ELi1ELi0ELi1ELi0ELi0EELi0ELi1ELi0EEEviiP15ncclDevWorkColl.has_recursion)
	.set .L_Z45ncclDevFunc_Reduce_RING_SIMPLE_Prod_u64_0_0_1v.has_indirect_call, or(0, .L_ZN12_GLOBAL__N_17runRingIm8FuncProdImE11ProtoSimpleILi1ELi1ELi0ELi1ELi0ELi0EELi0ELi1ELi0EEEviiP15ncclDevWorkColl.has_indirect_call)
	.section	.AMDGPU.csdata,"",@progbits
; Function info:
; codeLenInByte = 460
; TotalNumSgprs: 62
; NumVgprs: 120
; ScratchSize: 112
; MemoryBound: 0
	.text
	.p2align	2                               ; -- Begin function _ZN12_GLOBAL__N_17runRingIm8FuncProdImE11ProtoSimpleILi1ELi1ELi0ELi2ELi0ELi0EELi0ELi2ELi0EEEviiP15ncclDevWorkColl
	.type	_ZN12_GLOBAL__N_17runRingIm8FuncProdImE11ProtoSimpleILi1ELi1ELi0ELi2ELi0ELi0EELi0ELi2ELi0EEEviiP15ncclDevWorkColl,@function
_ZN12_GLOBAL__N_17runRingIm8FuncProdImE11ProtoSimpleILi1ELi1ELi0ELi2ELi0ELi0EELi0ELi2ELi0EEEviiP15ncclDevWorkColl: ; @_ZN12_GLOBAL__N_17runRingIm8FuncProdImE11ProtoSimpleILi1ELi1ELi0ELi2ELi0ELi0EELi0ELi2ELi0EEEviiP15ncclDevWorkColl
; %bb.0:
	s_wait_loadcnt_dscnt 0x0
	s_wait_kmcnt 0x0
	s_mov_b32 s43, s33
	s_mov_b32 s33, s32
	s_or_saveexec_b32 s0, -1
	scratch_store_b32 off, v44, s33 offset:16 ; 4-byte Folded Spill
	s_wait_xcnt 0x0
	s_mov_b32 exec_lo, s0
	s_add_co_i32 s32, s32, 32
	s_clause 0x3
	scratch_store_b32 off, v40, s33 offset:12
	; meta instruction
	scratch_store_b32 off, v41, s33 offset:8
	; meta instruction
	;; [unrolled: 2-line block ×3, first 2 shown]
	scratch_store_b32 off, v43, s33
	v_writelane_b32 v44, s30, 0
	v_writelane_b32 v44, s31, 1
	s_trap 2
	ds_load_b64 v[28:29], v0
	ds_load_b32 v9, v0
	flat_load_b64 v[6:7], v[2:3]
                                        ; implicit-def: $vgpr34_vgpr35
                                        ; implicit-def: $vgpr4_vgpr5
                                        ; implicit-def: $vgpr14_vgpr15
	s_wait_dscnt 0x2
	v_readfirstlane_b32 s0, v28
	v_readfirstlane_b32 s1, v29
	flat_load_u16 v33, v[2:3] offset:8
	flat_load_b32 v21, v29, s[0:1] offset:-4 scale_offset
	s_wait_xcnt 0x0
	s_mov_b32 s0, exec_lo
	s_wait_loadcnt_dscnt 0x202
	v_and_b32_e32 v8, 0xff, v6
	v_mov_b32_e32 v32, v7
	s_delay_alu instid0(VALU_DEP_2)
	v_cmpx_ne_u32_e64 v9, v8
	s_xor_b32 s0, exec_lo, s0
	s_cbranch_execz .LBB4_6
; %bb.1:
	v_bfe_u32 v10, v6, 8, 8
	v_not_b32_e32 v8, v8
	s_mov_b32 s1, exec_lo
                                        ; implicit-def: $vgpr34_vgpr35
                                        ; implicit-def: $vgpr4_vgpr5
                                        ; implicit-def: $vgpr14_vgpr15
	s_delay_alu instid0(VALU_DEP_2)
	v_cmpx_ne_u32_e64 v9, v10
	s_xor_b32 s1, exec_lo, s1
	s_cbranch_execz .LBB4_3
; %bb.2:
	s_clause 0x1
	flat_load_b128 v[4:7], v[2:3] offset:72
	flat_load_b64 v[10:11], v[2:3] offset:96
	v_add_nc_u32_e32 v8, v9, v8
	s_wait_loadcnt_dscnt 0x101
	s_delay_alu instid0(VALU_DEP_1) | instskip(SKIP_3) | instid1(VALU_DEP_3)
	v_mad_nc_u64_u32 v[14:15], v6, v8, v[4:5]
	v_ashrrev_i32_e32 v5, 31, v8
	s_wait_loadcnt_dscnt 0x0
	v_lshrrev_b64 v[34:35], 15, v[10:11]
                                        ; implicit-def: $vgpr10
	v_mad_u32 v4, v7, v8, v15
                                        ; implicit-def: $vgpr8
	s_delay_alu instid0(VALU_DEP_1)
	v_mad_u32 v15, v6, v5, v4
	v_mov_b64_e32 v[4:5], v[6:7]
.LBB4_3:
	s_wait_xcnt 0x0
	s_and_not1_saveexec_b32 s1, s1
	s_cbranch_execz .LBB4_5
; %bb.4:
	s_clause 0x1
	flat_load_b128 v[14:17], v[2:3] offset:72
	flat_load_b128 v[4:7], v[2:3] offset:88
	s_wait_loadcnt_dscnt 0x0
	v_dual_add_nc_u32 v6, v10, v8 :: v_dual_lshrrev_b32 v34, 4, v7
	s_delay_alu instid0(VALU_DEP_1) | instskip(NEXT) | instid1(VALU_DEP_1)
	v_mad_nc_u64_u32 v[14:15], v16, v6, v[14:15]
	v_mad_u32 v8, v17, v6, v15
	v_ashrrev_i32_e32 v6, 31, v6
	s_delay_alu instid0(VALU_DEP_1)
	v_mad_u32 v15, v16, v6, v8
.LBB4_5:
	s_wait_xcnt 0x0
	s_or_b32 exec_lo, exec_lo, s1
.LBB4_6:
	s_and_not1_saveexec_b32 s0, s0
	s_cbranch_execz .LBB4_8
; %bb.7:
	s_clause 0x1
	flat_load_b64 v[6:7], v[2:3] offset:96
	flat_load_b64 v[4:5], v[2:3] offset:72
	v_mov_b64_e32 v[14:15], 0
	s_wait_loadcnt_dscnt 0x101
	v_lshlrev_b64_e32 v[34:35], 6, v[6:7]
.LBB4_8:
	s_wait_xcnt 0x0
	s_or_b32 exec_lo, exec_lo, s0
	s_trap 2
	ds_load_b64 v[6:7], v0
	s_mov_b32 s1, 0
	s_mov_b32 s2, exec_lo
	s_wait_dscnt 0x0
	v_cmp_ne_u32_e32 vcc_lo, -1, v6
	v_cndmask_b32_e64 v51, 0, 1, vcc_lo
	v_cmp_ne_u32_e32 vcc_lo, -1, v7
	s_delay_alu instid0(VALU_DEP_2) | instskip(NEXT) | instid1(VALU_DEP_1)
	v_add_co_ci_u32_e64 v6, null, 0, v51, vcc_lo
	v_lshlrev_b32_e32 v7, 1, v6
	s_delay_alu instid0(VALU_DEP_1)
	v_cmpx_le_u32_e64 v7, v1
	s_xor_b32 s11, exec_lo, s2
	s_cbranch_execz .LBB4_607
; %bb.9:
	s_clause 0x1
	flat_load_b128 v[10:13], v[2:3] offset:16
	flat_load_b64 v[36:37], v[2:3] offset:104
	s_trap 2
	s_load_b32 s0, s[8:9], 0x0
	s_bfe_u32 s2, ttmp6, 0x4000c
	s_and_b32 s3, ttmp6, 15
	s_add_co_i32 s2, s2, 1
	s_getreg_b32 s4, hwreg(HW_REG_IB_STS2, 6, 4)
	s_mul_i32 s2, ttmp9, s2
	v_dual_mov_b32 v2, 0 :: v_dual_mov_b32 v30, 4
	s_add_co_i32 s3, s3, s2
	s_cmp_eq_u32 s4, 0
	s_cselect_b32 s2, ttmp9, s3
	s_wait_kmcnt 0x0
	s_cmp_lt_u32 s2, s0
	s_mov_b32 s2, exec_lo
	s_cselect_b32 s0, 12, 18
	s_delay_alu instid0(SALU_CYCLE_1)
	s_add_nc_u64 s[0:1], s[8:9], s[0:1]
	global_load_u16 v29, v2, s[0:1]
	s_wait_xcnt 0x0
	ds_load_b32 v2, v0
	s_wait_dscnt 0x0
	v_readfirstlane_b32 s1, v2
	v_cmpx_ge_i32_e64 v0, v51
	s_cbranch_execz .LBB4_19
; %bb.10:
	v_cmp_ge_u32_e64 s0, v0, v6
                                        ; implicit-def: $vgpr30
	s_and_saveexec_b32 s3, s0
	s_delay_alu instid0(SALU_CYCLE_1)
	s_xor_b32 s0, exec_lo, s3
	s_cbranch_execz .LBB4_16
; %bb.11:
	v_cndmask_b32_e64 v2, 0, 1, vcc_lo
	s_mov_b32 s3, exec_lo
	s_delay_alu instid0(VALU_DEP_1) | instskip(NEXT) | instid1(VALU_DEP_1)
	v_sub_nc_u32_e32 v2, v1, v2
	v_cmpx_ge_u32_e64 v0, v2
	s_xor_b32 s3, exec_lo, s3
; %bb.12:
                                        ; implicit-def: $vgpr6
; %bb.13:
	s_delay_alu instid0(SALU_CYCLE_1)
	s_or_saveexec_b32 s3, s3
	v_mov_b32_e32 v30, 16
	s_xor_b32 exec_lo, exec_lo, s3
; %bb.14:
	v_sub_nc_u32_e32 v2, v1, v6
	s_delay_alu instid0(VALU_DEP_1)
	v_cmp_lt_i32_e32 vcc_lo, v0, v2
	v_cndmask_b32_e64 v30, 32, 0, vcc_lo
; %bb.15:
	s_or_b32 exec_lo, exec_lo, s3
.LBB4_16:
	s_and_not1_saveexec_b32 s0, s0
; %bb.17:
	v_mov_b32_e32 v30, 8
; %bb.18:
	s_or_b32 exec_lo, exec_lo, s0
.LBB4_19:
	s_delay_alu instid0(SALU_CYCLE_1) | instskip(NEXT) | instid1(VALU_DEP_1)
	s_or_b32 exec_lo, exec_lo, s2
	v_dual_mov_b32 v35, -1 :: v_dual_bitop2_b32 v2, 36, v30 bitop3:0x40
	s_delay_alu instid0(VALU_DEP_1)
	v_cmp_ne_u32_e32 vcc_lo, 0, v2
	s_and_saveexec_b32 s0, vcc_lo
	s_cbranch_execz .LBB4_21
; %bb.20:
	s_trap 2
	ds_load_b32 v35, v0
.LBB4_21:
	s_or_b32 exec_lo, exec_lo, s0
	v_and_b32_e32 v2, 24, v30
	s_mov_b32 s2, exec_lo
	s_delay_alu instid0(VALU_DEP_1)
	v_cmpx_ne_u32_e32 0, v2
	s_cbranch_execz .LBB4_23
; %bb.22:
	s_trap 2
	s_wait_dscnt 0x0
	ds_load_b32 v35, v0
.LBB4_23:
	s_or_b32 exec_lo, exec_lo, s2
	s_wait_loadcnt 0x4
	v_lshrrev_b64 v[2:3], 31, v[32:33]
	v_mov_b64_e32 v[16:17], 0
	v_mov_b64_e32 v[6:7], 0
                                        ; implicit-def: $vgpr20
                                        ; implicit-def: $vgpr24_vgpr25
                                        ; implicit-def: $vgpr22_vgpr23
                                        ; implicit-def: $vgpr18_vgpr19
	s_delay_alu instid0(VALU_DEP_3) | instskip(NEXT) | instid1(VALU_DEP_1)
	v_and_b32_e32 v2, 3, v2
	v_and_b32_e32 v33, 0xffff, v2
                                        ; implicit-def: $vgpr2_vgpr3
	s_and_saveexec_b32 s0, vcc_lo
	s_cbranch_execz .LBB4_33
; %bb.24:
	s_trap 2
	ds_load_b64 v[2:3], v0
	s_wait_dscnt 0x0
	v_readfirstlane_b32 s2, v2
	v_readfirstlane_b32 s3, v3
	flat_load_b64 v[2:3], v35, s[2:3] scale_offset
	s_wait_loadcnt_dscnt 0x0
	v_mad_nc_u64_u32 v[26:27], 0xa8, v33, v[2:3]
	flat_load_b32 v2, v[26:27] offset:640
	s_wait_loadcnt_dscnt 0x0
	v_cmp_eq_u32_e32 vcc_lo, 1, v2
                                        ; implicit-def: $vgpr2_vgpr3
	s_wait_xcnt 0x0
	s_and_saveexec_b32 s2, vcc_lo
	s_cbranch_execz .LBB4_26
; %bb.25:
	flat_load_b64 v[2:3], v[26:27] offset:648
	v_or_b32_e32 v30, 0x2000, v30
	s_wait_loadcnt_dscnt 0x0
	flat_load_b64 v[6:7], v[2:3]
	s_trap 2
	s_wait_loadcnt_dscnt 0x0
	ds_store_b64 v0, v[6:7]
	flat_load_b64 v[6:7], v[2:3] offset:8
	s_wait_loadcnt_dscnt 0x0
	ds_store_b64 v0, v[6:7]
	flat_load_b64 v[6:7], v[2:3] offset:16
	s_wait_loadcnt_dscnt 0x0
	ds_store_b64 v0, v[6:7]
.LBB4_26:
	s_wait_xcnt 0x0
	s_or_b32 exec_lo, exec_lo, s2
	flat_load_b64 v[8:9], v[26:27] offset:608
	v_and_b32_e32 v6, 32, v30
	s_mov_b32 s2, exec_lo
                                        ; implicit-def: $vgpr18_vgpr19
	s_wait_xcnt 0x0
	s_delay_alu instid0(VALU_DEP_1)
	v_cmpx_ne_u32_e32 0, v6
	s_cbranch_execz .LBB4_28
; %bb.27:
	flat_load_b64 v[18:19], v[26:27] offset:560
	global_wb scope:SCOPE_SYS
	s_wait_storecnt 0x0
	s_wait_xcnt 0x0
	s_wait_loadcnt_dscnt 0x0
	flat_store_b64 v[18:19], v[8:9] scope:SCOPE_SYS
.LBB4_28:
	s_wait_xcnt 0x0
	s_or_b32 exec_lo, exec_lo, s2
	v_and_b32_e32 v20, 4, v30
	v_add_nc_u64_e32 v[16:17], 0x1f8, v[26:27]
	v_mov_b64_e32 v[6:7], 0
                                        ; implicit-def: $vgpr24_vgpr25
                                        ; implicit-def: $vgpr22_vgpr23
	s_delay_alu instid0(VALU_DEP_3)
	v_cmp_ne_u32_e32 vcc_lo, 0, v20
                                        ; implicit-def: $vgpr20
	s_and_saveexec_b32 s2, vcc_lo
	s_cbranch_execz .LBB4_32
; %bb.29:
	v_and_b32_e32 v6, 0x800, v30
	s_mov_b32 s3, exec_lo
	s_delay_alu instid0(VALU_DEP_1)
	v_cmpx_eq_u32_e32 0, v6
	s_cbranch_execz .LBB4_31
; %bb.30:
	s_trap 2
	ds_store_b64 v0, v[16:17]
.LBB4_31:
	s_or_b32 exec_lo, exec_lo, s3
	flat_load_b64 v[18:19], v[26:27] offset:552
	s_wait_loadcnt_dscnt 0x0
	flat_load_b64 v[24:25], v[18:19] scope:SCOPE_SYS
	s_clause 0x2
	flat_load_b32 v20, v[26:27] offset:576
	flat_load_b64 v[6:7], v[26:27] offset:600
	flat_load_b64 v[22:23], v[26:27] offset:520
	s_wait_xcnt 0x0
	v_or_b32_e32 v26, 0x100, v30
	s_wait_loadcnt_dscnt 0x101
	v_cmp_eq_u64_e32 vcc_lo, 0, v[6:7]
	s_delay_alu instid0(VALU_DEP_2)
	v_dual_ashrrev_i32 v20, 3, v20 :: v_dual_cndmask_b32 v30, v26, v30, vcc_lo
.LBB4_32:
	s_or_b32 exec_lo, exec_lo, s2
.LBB4_33:
	s_delay_alu instid0(SALU_CYCLE_1) | instskip(NEXT) | instid1(VALU_DEP_1)
	s_or_b32 exec_lo, exec_lo, s0
	v_and_b32_e32 v26, 24, v30
	s_delay_alu instid0(VALU_DEP_1)
	v_cmp_ne_u32_e32 vcc_lo, 0, v26
                                        ; implicit-def: $vgpr26_vgpr27
	s_and_saveexec_b32 s0, vcc_lo
	s_cbranch_execz .LBB4_41
; %bb.34:
	s_trap 2
	ds_load_b64 v[6:7], v0
	v_or_b32_e32 v26, 0x100, v30
	s_wait_dscnt 0x0
	v_readfirstlane_b32 s2, v6
	v_readfirstlane_b32 s3, v7
	flat_load_b64 v[6:7], v35, s[2:3] scale_offset
	s_wait_loadcnt_dscnt 0x0
	v_mad_nc_u64_u32 v[16:17], 0xa8, v33, v[6:7]
	flat_load_b128 v[6:9], v[16:17] offset:96
	s_wait_loadcnt_dscnt 0x0
	v_cmp_eq_u64_e32 vcc_lo, 0, v[6:7]
	v_cndmask_b32_e32 v30, v26, v30, vcc_lo
	s_delay_alu instid0(VALU_DEP_1) | instskip(NEXT) | instid1(VALU_DEP_1)
	v_and_b32_e32 v26, 16, v30
	v_cmp_ne_u32_e32 vcc_lo, 0, v26
                                        ; implicit-def: $vgpr26_vgpr27
	s_wait_xcnt 0x0
	s_and_saveexec_b32 s2, vcc_lo
	s_cbranch_execz .LBB4_36
; %bb.35:
	s_clause 0x2
	flat_load_b64 v[18:19], v[16:17] offset:48
	flat_load_b64 v[26:27], v[16:17] offset:120
	;; [unrolled: 1-line block ×3, first 2 shown]
.LBB4_36:
	s_wait_xcnt 0x0
	s_or_b32 exec_lo, exec_lo, s2
	v_and_b32_e32 v33, 8, v30
	s_mov_b32 s2, exec_lo
	s_delay_alu instid0(VALU_DEP_1)
	v_cmpx_ne_u32_e32 0, v33
	s_cbranch_execz .LBB4_40
; %bb.37:
	s_wait_loadcnt_dscnt 0x202
	v_and_b32_e32 v18, 0x800, v30
	s_mov_b32 s3, exec_lo
	s_delay_alu instid0(VALU_DEP_1)
	v_cmpx_eq_u32_e32 0, v18
	s_cbranch_execz .LBB4_39
; %bb.38:
	s_trap 2
	ds_store_b64 v0, v[16:17]
.LBB4_39:
	s_or_b32 exec_lo, exec_lo, s3
	flat_load_b64 v[18:19], v[16:17] offset:56
	s_wait_loadcnt_dscnt 0x0
	flat_load_b64 v[24:25], v[18:19] scope:SCOPE_SYS
	s_clause 0x1
	flat_load_b32 v20, v[16:17] offset:72
	flat_load_b64 v[22:23], v[16:17] offset:16
	s_wait_loadcnt_dscnt 0x101
	v_ashrrev_i32_e32 v20, 3, v20
.LBB4_40:
	s_wait_xcnt 0x0
	s_or_b32 exec_lo, exec_lo, s2
.LBB4_41:
	s_delay_alu instid0(SALU_CYCLE_1)
	s_or_b32 exec_lo, exec_lo, s0
	v_cmp_eq_u32_e64 s0, 0, v0
	s_and_saveexec_b32 s2, s0
	s_cbranch_execz .LBB4_43
; %bb.42:
	v_mov_b64_e32 v[38:39], 0
	s_wait_loadcnt 0x2
	ds_store_2addr_b64 v0, v[12:13], v[10:11] offset1:1
	s_trap 2
	ds_store_b64 v0, v[38:39]
	s_wait_loadcnt 0x1
	ds_store_b64 v0, v[36:37]
.LBB4_43:
	s_or_b32 exec_lo, exec_lo, s2
	s_ashr_i32 s2, s1, 31
	s_wait_loadcnt 0x2
	v_and_b32_e32 v12, 0x7ffffc0, v34
	s_lshr_b32 s2, s2, 29
	v_bfe_u32 v32, v32, 1, 30
	v_mov_b32_e32 v13, 0
	s_wait_loadcnt 0x0
	v_and_b32_e32 v82, 0xffff, v29
	s_add_co_i32 s1, s1, s2
                                        ; implicit-def: $vgpr10_vgpr11
	s_delay_alu instid0(SALU_CYCLE_1)
	s_ashr_i32 s10, s1, 6
	s_mov_b32 s1, exec_lo
	v_cmpx_ne_u32_e64 v21, v32
	s_xor_b32 s12, exec_lo, s1
	s_cbranch_execz .LBB4_397
; %bb.44:
                                        ; implicit-def: $vgpr10_vgpr11
	s_mov_b32 s1, exec_lo
	v_cmpx_ne_u32_e64 v28, v32
	s_xor_b32 s13, exec_lo, s1
	s_cbranch_execz .LBB4_226
; %bb.45:
	v_mov_b64_e32 v[10:11], 0
	s_mov_b32 s14, exec_lo
	v_cmpx_ne_u64_e32 0, v[4:5]
	s_cbranch_execz .LBB4_225
; %bb.46:
	v_dual_ashrrev_i32 v10, 31, v0 :: v_dual_bitop2_b32 v11, 31, v31 bitop3:0x40
	v_dual_ashrrev_i32 v21, 31, v20 :: v_dual_mov_b32 v33, 0
	s_delay_alu instid0(VALU_DEP_2)
	v_dual_lshlrev_b32 v32, 3, v1 :: v_dual_lshrrev_b32 v10, 27, v10
	s_lshr_b32 s4, s10, 27
	s_wait_dscnt 0x1
	v_cmp_eq_u64_e64 s7, 0, v[26:27]
	s_add_co_i32 s4, s10, s4
	v_cmp_eq_u32_e32 vcc_lo, 32, v1
	v_dual_add_nc_u32 v10, v0, v10 :: v_dual_lshrrev_b32 v28, 5, v1
	s_ashr_i32 s15, s4, 5
	v_cmp_eq_u32_e64 s4, 0, v11
	v_mov_b64_e32 v[52:53], 0
	s_delay_alu instid0(VALU_DEP_3) | instskip(SKIP_3) | instid1(VALU_DEP_3)
	v_and_b32_e32 v34, 0xffffffe0, v10
	v_dual_ashrrev_i32 v83, 5, v10 :: v_dual_mov_b32 v29, v33
	v_cmp_ge_i32_e64 s1, v0, v1
	v_cmp_ne_u32_e64 s2, 32, v1
	v_dual_sub_nc_u32 v84, v0, v34 :: v_dual_lshlrev_b32 v10, 10, v83
	v_cmp_ne_u32_e64 s3, v1, v82
	s_wait_dscnt 0x0
	v_dual_mov_b32 v35, v33 :: v_dual_lshlrev_b32 v34, 10, v28
	s_delay_alu instid0(VALU_DEP_3)
	v_cmp_le_i32_e64 s5, v84, v51
	v_lshl_add_u32 v38, v84, 4, v10
	v_cmp_lt_i32_e64 s6, v84, v51
	v_mov_b64_e32 v[50:51], 0
	v_mov_b64_e32 v[10:11], 0
	v_dual_mov_b32 v37, v33 :: v_dual_lshlrev_b32 v36, 9, v28
	v_and_b32_e32 v48, 0xff00, v32
	v_dual_mov_b32 v49, v33 :: v_dual_ashrrev_i32 v39, 31, v38
	v_dual_mov_b32 v85, 1 :: v_dual_mov_b32 v86, 0x90
	s_mov_b32 s16, 0
	s_xor_b32 s17, vcc_lo, -1
	s_xor_b32 s18, s7, -1
	s_trap 2
	s_branch .LBB4_49
.LBB4_47:                               ;   in Loop: Header=BB4_49 Depth=1
	s_wait_xcnt 0x0
	s_or_b32 exec_lo, exec_lo, s7
.LBB4_48:                               ;   in Loop: Header=BB4_49 Depth=1
	s_delay_alu instid0(SALU_CYCLE_1) | instskip(SKIP_1) | instid1(VALU_DEP_1)
	s_or_b32 exec_lo, exec_lo, s20
	v_add_nc_u64_e32 v[52:53], v[52:53], v[12:13]
	v_cmp_ge_u64_e32 vcc_lo, v[52:53], v[4:5]
	s_or_b32 s16, vcc_lo, s16
	s_delay_alu instid0(SALU_CYCLE_1)
	s_and_not1_b32 exec_lo, exec_lo, s16
	s_cbranch_execz .LBB4_224
.LBB4_49:                               ; =>This Loop Header: Depth=1
                                        ;     Child Loop BB4_58 Depth 2
                                        ;     Child Loop BB4_86 Depth 2
	;; [unrolled: 1-line block ×10, first 2 shown]
	v_sub_nc_u64_e32 v[54:55], v[4:5], v[52:53]
	s_delay_alu instid0(VALU_DEP_1) | instskip(NEXT) | instid1(VALU_DEP_1)
	v_min_u64 v[54:55], v[12:13], v[54:55]
	v_add_nc_u32_e32 v32, 15, v54
	s_delay_alu instid0(VALU_DEP_2) | instskip(NEXT) | instid1(VALU_DEP_2)
	v_cmp_eq_u64_e32 vcc_lo, 0, v[54:55]
	v_and_b32_e32 v32, 0xffffff0, v32
	s_or_b32 s19, s1, vcc_lo
	s_delay_alu instid0(SALU_CYCLE_1) | instskip(NEXT) | instid1(VALU_DEP_1)
	s_xor_b32 s7, s19, -1
	v_dual_mov_b32 v32, 0 :: v_dual_max_i32 v55, s15, v32
	s_and_saveexec_b32 s20, s7
	s_cbranch_execz .LBB4_172
; %bb.50:                               ;   in Loop: Header=BB4_49 Depth=1
	s_and_saveexec_b32 s7, s0
	s_cbranch_execz .LBB4_52
; %bb.51:                               ;   in Loop: Header=BB4_49 Depth=1
	s_trap 2
	ds_load_b64 v[64:65], v0
	s_wait_dscnt 0x0
	v_lshl_add_u64 v[64:65], v[14:15], 3, v[64:65]
	s_delay_alu instid0(VALU_DEP_1)
	v_lshl_add_u64 v[64:65], v[52:53], 3, v[64:65]
	ds_store_b64 v0, v[64:65]
	ds_store_b64 v0, v[50:51]
.LBB4_52:                               ;   in Loop: Header=BB4_49 Depth=1
	s_or_b32 exec_lo, exec_lo, s7
	v_and_b32_e32 v32, 12, v30
	v_min_u32_e32 v55, v55, v54
	s_mov_b32 s21, exec_lo
	s_delay_alu instid0(VALU_DEP_2)
	v_cmpx_ne_u32_e32 0, v32
	s_cbranch_execz .LBB4_78
; %bb.53:                               ;   in Loop: Header=BB4_49 Depth=1
	v_and_b32_e32 v32, 8, v30
	v_add_nc_u64_e32 v[64:65], 1, v[8:9]
	s_mov_b32 s22, exec_lo
	s_wait_loadcnt 0x0
	s_delay_alu instid0(VALU_DEP_2) | instskip(NEXT) | instid1(VALU_DEP_1)
	v_add_nc_u64_e32 v[66:67], v[24:25], v[32:33]
	v_cmpx_lt_u64_e64 v[66:67], v[64:65]
	s_cbranch_execz .LBB4_65
; %bb.54:                               ;   in Loop: Header=BB4_49 Depth=1
	v_and_b32_e32 v9, 64, v30
	s_mov_b32 s23, 0
	s_mov_b32 s27, 0
                                        ; implicit-def: $sgpr24
                                        ; implicit-def: $sgpr25
                                        ; implicit-def: $sgpr26
	s_delay_alu instid0(VALU_DEP_1)
	v_cmp_eq_u32_e32 vcc_lo, 0, v9
	s_branch .LBB4_58
.LBB4_55:                               ;   in Loop: Header=BB4_58 Depth=2
	s_wait_loadcnt_dscnt 0x0
	v_add_nc_u64_e32 v[66:67], v[24:25], v[32:33]
	s_or_b32 s40, s40, exec_lo
	s_delay_alu instid0(VALU_DEP_1)
	v_cmp_ge_u64_e64 s7, v[66:67], v[64:65]
	s_or_not1_b32 s29, s7, exec_lo
.LBB4_56:                               ;   in Loop: Header=BB4_58 Depth=2
	s_or_b32 exec_lo, exec_lo, s42
	s_delay_alu instid0(SALU_CYCLE_1)
	s_and_not1_b32 s7, s26, exec_lo
	s_and_b32 s26, s40, exec_lo
	s_and_not1_b32 s25, s25, exec_lo
	s_and_b32 s29, s29, exec_lo
	s_or_b32 s26, s7, s26
	s_or_b32 s25, s25, s29
.LBB4_57:                               ;   in Loop: Header=BB4_58 Depth=2
	s_or_b32 exec_lo, exec_lo, s28
	s_delay_alu instid0(SALU_CYCLE_1) | instskip(NEXT) | instid1(SALU_CYCLE_1)
	s_and_b32 s7, exec_lo, s25
	s_or_b32 s23, s7, s23
	s_and_not1_b32 s7, s24, exec_lo
	s_and_b32 s24, s26, exec_lo
	s_delay_alu instid0(SALU_CYCLE_1)
	s_or_b32 s24, s7, s24
	s_and_not1_b32 exec_lo, exec_lo, s23
	s_cbranch_execz .LBB4_62
.LBB4_58:                               ;   Parent Loop BB4_49 Depth=1
                                        ; =>  This Inner Loop Header: Depth=2
	s_sleep 1
	s_wait_loadcnt_dscnt 0x0
	flat_load_b64 v[24:25], v[18:19] scope:SCOPE_SYS
	s_or_b32 s26, s26, exec_lo
	s_or_b32 s25, s25, exec_lo
                                        ; implicit-def: $vgpr9
	s_wait_xcnt 0x0
	s_and_saveexec_b32 s28, vcc_lo
	s_cbranch_execz .LBB4_57
; %bb.59:                               ;   in Loop: Header=BB4_58 Depth=2
	s_cmp_lt_i32 s27, 0x270f
	s_mov_b32 s29, -1
	s_cselect_b32 s41, -1, 0
	s_cmp_gt_i32 s27, 0x270e
	s_cbranch_scc0 .LBB4_61
; %bb.60:                               ;   in Loop: Header=BB4_58 Depth=2
	s_trap 2
	ds_load_b64 v[66:67], v0
	s_and_not1_b32 s27, s41, exec_lo
	s_mov_b32 s40, 0
	s_wait_storecnt 0x0
	s_wait_loadcnt_dscnt 0x0
	flat_load_b32 v9, v[66:67] scope:SCOPE_SYS
	s_wait_loadcnt_dscnt 0x0
	global_inv scope:SCOPE_SYS
	v_cmp_eq_u32_e64 s7, 0, v9
	s_and_b32 s7, s7, exec_lo
	s_delay_alu instid0(SALU_CYCLE_1)
	s_or_b32 s41, s27, s7
	s_mov_b32 s27, 0
	s_and_saveexec_b32 s42, s41
	s_cbranch_execz .LBB4_56
	s_branch .LBB4_55
.LBB4_61:                               ;   in Loop: Header=BB4_58 Depth=2
	s_add_co_i32 s27, s27, 1
	s_mov_b32 s40, -1
                                        ; implicit-def: $vgpr9
	s_and_saveexec_b32 s42, s41
	s_cbranch_execz .LBB4_56
	s_branch .LBB4_55
.LBB4_62:                               ;   in Loop: Header=BB4_49 Depth=1
	s_or_b32 exec_lo, exec_lo, s23
	s_xor_b32 s7, s24, -1
	s_delay_alu instid0(SALU_CYCLE_1) | instskip(NEXT) | instid1(SALU_CYCLE_1)
	s_and_saveexec_b32 s23, s7
	s_xor_b32 s7, exec_lo, s23
	s_cbranch_execz .LBB4_64
; %bb.63:                               ;   in Loop: Header=BB4_49 Depth=1
	v_or_b32_e32 v30, 64, v30
	s_wait_storecnt 0x0
	s_wait_loadcnt_dscnt 0x0
	ds_store_b32 v0, v9
	s_trap 2
.LBB4_64:                               ;   in Loop: Header=BB4_49 Depth=1
	s_or_b32 exec_lo, exec_lo, s7
.LBB4_65:                               ;   in Loop: Header=BB4_49 Depth=1
	s_delay_alu instid0(SALU_CYCLE_1) | instskip(SKIP_2) | instid1(VALU_DEP_1)
	s_or_b32 exec_lo, exec_lo, s22
	v_and_b32_e32 v9, 0x108, v30
	;;#ASMSTART
	s_wakeup
	;;#ASMEND
	v_cmp_ne_u32_e32 vcc_lo, 0x108, v9
	v_and_b32_e32 v8, 7, v8
	s_and_saveexec_b32 s7, vcc_lo
	s_delay_alu instid0(SALU_CYCLE_1)
	s_xor_b32 s7, exec_lo, s7
; %bb.66:                               ;   in Loop: Header=BB4_49 Depth=1
	v_mov_b32_e32 v9, v33
; %bb.67:                               ;   in Loop: Header=BB4_49 Depth=1
	s_and_not1_saveexec_b32 s7, s7
	s_cbranch_execz .LBB4_69
; %bb.68:                               ;   in Loop: Header=BB4_49 Depth=1
	v_mad_nc_u64_u32 v[66:67], v8, 24, v[6:7]
	v_dual_mov_b32 v69, v33 :: v_dual_lshlrev_b32 v68, 3, v55
	v_mov_b32_e32 v9, v33
	flat_store_b64 v[66:67], v[68:69] offset:8
.LBB4_69:                               ;   in Loop: Header=BB4_49 Depth=1
	s_wait_xcnt 0x0
	s_or_b32 exec_lo, exec_lo, s7
	v_and_b32_e32 v66, 0x100, v30
	s_mov_b32 s7, -1
	s_delay_alu instid0(VALU_DEP_1)
	v_cmp_ne_u32_e32 vcc_lo, 0, v66
                                        ; implicit-def: $vgpr66_vgpr67
	s_and_saveexec_b32 s22, vcc_lo
	s_cbranch_execz .LBB4_73
; %bb.70:                               ;   in Loop: Header=BB4_49 Depth=1
	v_mad_nc_u64_u32 v[68:69], v8, 24, v[6:7]
	s_delay_alu instid0(VALU_DEP_1)
	v_mad_u32 v69, v9, 24, v69
	flat_load_b32 v66, v[68:69]
	s_wait_loadcnt_dscnt 0x0
	v_cmp_eq_u32_e64 s7, 1, v66
	v_cmp_ne_u32_e32 vcc_lo, 1, v66
                                        ; implicit-def: $vgpr66_vgpr67
	s_wait_xcnt 0x0
	s_and_saveexec_b32 s23, s7
	s_cbranch_execz .LBB4_72
; %bb.71:                               ;   in Loop: Header=BB4_49 Depth=1
	flat_load_b32 v66, v[68:69] offset:4 scope:SCOPE_SYS
	s_wait_loadcnt_dscnt 0x0
	v_ashrrev_i32_e32 v67, 31, v66
	s_delay_alu instid0(VALU_DEP_1)
	v_lshrrev_b64 v[66:67], 3, v[66:67]
.LBB4_72:                               ;   in Loop: Header=BB4_49 Depth=1
	s_wait_xcnt 0x0
	s_or_b32 exec_lo, exec_lo, s23
	s_delay_alu instid0(SALU_CYCLE_1)
	s_or_not1_b32 s7, vcc_lo, exec_lo
.LBB4_73:                               ;   in Loop: Header=BB4_49 Depth=1
	s_or_b32 exec_lo, exec_lo, s22
	s_and_saveexec_b32 s22, s7
; %bb.74:                               ;   in Loop: Header=BB4_49 Depth=1
	v_mul_u64_e32 v[66:67], v[8:9], v[20:21]
; %bb.75:                               ;   in Loop: Header=BB4_49 Depth=1
	s_or_b32 exec_lo, exec_lo, s22
	v_cmp_eq_u32_e32 vcc_lo, 0, v32
	v_and_b32_e32 v68, 0x2000, v30
	s_delay_alu instid0(VALU_DEP_3) | instskip(SKIP_2) | instid1(VALU_DEP_1)
	v_lshl_add_u64 v[8:9], v[66:67], 3, v[22:23]
	s_mov_b32 s7, exec_lo
	v_cndmask_b32_e32 v32, 0xc8, v86, vcc_lo
	v_add_nc_u32_e32 v32, v0, v32
	ds_store_b64 v32, v[8:9] offset:584
	v_cmpx_ne_u32_e32 0, v68
	s_cbranch_execz .LBB4_77
; %bb.76:                               ;   in Loop: Header=BB4_49 Depth=1
	ds_load_b64 v[8:9], v0 offset:872
	s_wait_dscnt 0x0
	v_add_nc_u64_e32 v[8:9], 1, v[8:9]
	ds_store_b64 v0, v[8:9] offset:872
.LBB4_77:                               ;   in Loop: Header=BB4_49 Depth=1
	s_or_b32 exec_lo, exec_lo, s7
	v_mov_b64_e32 v[8:9], v[64:65]
.LBB4_78:                               ;   in Loop: Header=BB4_49 Depth=1
	s_or_b32 exec_lo, exec_lo, s21
	s_and_saveexec_b32 s7, s2
	s_cbranch_execz .LBB4_97
; %bb.79:                               ;   in Loop: Header=BB4_49 Depth=1
	s_and_saveexec_b32 s21, s3
	s_delay_alu instid0(SALU_CYCLE_1)
	s_xor_b32 s21, exec_lo, s21
	s_cbranch_execz .LBB4_94
; %bb.80:                               ;   in Loop: Header=BB4_49 Depth=1
	s_and_saveexec_b32 s22, s4
	s_cbranch_execz .LBB4_93
; %bb.81:                               ;   in Loop: Header=BB4_49 Depth=1
	s_mov_b32 s24, exec_lo
	s_mov_b32 s23, exec_lo
	v_mbcnt_lo_u32_b32 v32, s24, 0
	global_wb scope:SCOPE_DEV
	s_wait_storecnt 0x0
	s_wait_loadcnt_dscnt 0x0
	global_inv scope:SCOPE_DEV
	v_cmpx_eq_u32_e32 0, v32
	s_cbranch_execz .LBB4_83
; %bb.82:                               ;   in Loop: Header=BB4_49 Depth=1
	s_bcnt1_i32_b32 s24, s24
	s_delay_alu instid0(SALU_CYCLE_1)
	v_mov_b32_e32 v32, s24
	s_wait_loadcnt 0x0
	ds_add_u64 v0, v[32:33]
	s_trap 2
.LBB4_83:                               ;   in Loop: Header=BB4_49 Depth=1
	s_or_b32 exec_lo, exec_lo, s23
	s_trap 2
	ds_load_b64 v[64:65], v0
	s_wait_dscnt 0x0
	v_add_nc_u64_e32 v[10:11], v[10:11], v[28:29]
	s_mov_b32 s23, exec_lo
	s_delay_alu instid0(VALU_DEP_1)
	v_cmpx_lt_u64_e64 v[64:65], v[10:11]
	s_cbranch_execz .LBB4_92
; %bb.84:                               ;   in Loop: Header=BB4_49 Depth=1
	s_mov_b32 s24, 0
	s_mov_b32 s27, 0
                                        ; implicit-def: $sgpr25
                                        ; implicit-def: $sgpr26
	s_branch .LBB4_86
.LBB4_85:                               ;   in Loop: Header=BB4_86 Depth=2
	s_or_b32 exec_lo, exec_lo, s29
	s_delay_alu instid0(SALU_CYCLE_1) | instskip(NEXT) | instid1(SALU_CYCLE_1)
	s_and_b32 s28, exec_lo, s40
	s_or_b32 s24, s28, s24
	s_and_not1_b32 s25, s25, exec_lo
	s_and_b32 s28, s26, exec_lo
	s_delay_alu instid0(SALU_CYCLE_1)
	s_or_b32 s25, s25, s28
	s_and_not1_b32 exec_lo, exec_lo, s24
	s_cbranch_execz .LBB4_90
.LBB4_86:                               ;   Parent Loop BB4_49 Depth=1
                                        ; =>  This Inner Loop Header: Depth=2
	s_add_co_i32 s27, s27, 1
	s_delay_alu instid0(SALU_CYCLE_1) | instskip(SKIP_1) | instid1(SALU_CYCLE_1)
	s_cmp_lg_u32 s27, 0x2710
	s_cselect_b32 s28, -1, 0
	s_and_b32 vcc_lo, exec_lo, s28
	s_cbranch_vccz .LBB4_88
; %bb.87:                               ;   in Loop: Header=BB4_86 Depth=2
	s_mov_b32 s40, -1
	s_or_b32 s26, s26, exec_lo
	s_and_saveexec_b32 s29, s28
	s_cbranch_execz .LBB4_85
	s_branch .LBB4_89
.LBB4_88:                               ;   in Loop: Header=BB4_86 Depth=2
	s_trap 2
	ds_load_b64 v[64:65], v0
	s_and_not1_b32 s28, s28, exec_lo
	s_mov_b32 s27, 0
	s_wait_loadcnt_dscnt 0x0
	flat_load_b32 v32, v[64:65] scope:SCOPE_SYS
	s_wait_loadcnt_dscnt 0x0
	global_inv scope:SCOPE_SYS
	v_cmp_eq_u32_e32 vcc_lo, 0, v32
	s_and_b32 s29, vcc_lo, exec_lo
	s_delay_alu instid0(SALU_CYCLE_1)
	s_or_b32 s28, s28, s29
	s_mov_b32 s40, -1
	s_or_b32 s26, s26, exec_lo
	s_and_saveexec_b32 s29, s28
	s_cbranch_execz .LBB4_85
.LBB4_89:                               ;   in Loop: Header=BB4_86 Depth=2
	s_sleep 1
	s_trap 2
	ds_load_b64 v[64:65], v0
	s_wait_dscnt 0x0
	s_and_not1_b32 s26, s26, exec_lo
	v_cmp_ge_u64_e32 vcc_lo, v[64:65], v[10:11]
	s_or_not1_b32 s40, vcc_lo, exec_lo
	s_branch .LBB4_85
.LBB4_90:                               ;   in Loop: Header=BB4_49 Depth=1
	s_or_b32 exec_lo, exec_lo, s24
	s_and_saveexec_b32 s24, s25
	s_delay_alu instid0(SALU_CYCLE_1)
	s_xor_b32 s24, exec_lo, s24
	s_cbranch_execz .LBB4_92
; %bb.91:                               ;   in Loop: Header=BB4_49 Depth=1
	ds_store_b32 v0, v85
	s_trap 2
.LBB4_92:                               ;   in Loop: Header=BB4_49 Depth=1
	s_or_b32 exec_lo, exec_lo, s23
	;;#ASMSTART
	s_wakeup
	;;#ASMEND
.LBB4_93:                               ;   in Loop: Header=BB4_49 Depth=1
	s_or_b32 exec_lo, exec_lo, s22
.LBB4_94:                               ;   in Loop: Header=BB4_49 Depth=1
	s_and_not1_saveexec_b32 s21, s21
	s_cbranch_execz .LBB4_96
; %bb.95:                               ;   in Loop: Header=BB4_49 Depth=1
	global_wb scope:SCOPE_DEV
	s_wait_storecnt 0x0
	s_wait_loadcnt_dscnt 0x0
	global_inv scope:SCOPE_DEV
	s_barrier_signal -1
	s_barrier_wait -1
.LBB4_96:                               ;   in Loop: Header=BB4_49 Depth=1
	s_or_b32 exec_lo, exec_lo, s21
.LBB4_97:                               ;   in Loop: Header=BB4_49 Depth=1
	s_delay_alu instid0(SALU_CYCLE_1) | instskip(SKIP_3) | instid1(VALU_DEP_1)
	s_or_b32 exec_lo, exec_lo, s7
	s_trap 2
	ds_load_b32 v68, v0
	v_and_b32_e32 v32, 0x4000, v30
	v_cmp_ne_u32_e32 vcc_lo, 0, v32
	s_and_b32 s21, s17, vcc_lo
	s_delay_alu instid0(SALU_CYCLE_1)
	s_and_saveexec_b32 s7, s21
	s_cbranch_execz .LBB4_116
; %bb.98:                               ;   in Loop: Header=BB4_49 Depth=1
	s_and_saveexec_b32 s21, s3
	s_delay_alu instid0(SALU_CYCLE_1)
	s_xor_b32 s21, exec_lo, s21
	s_cbranch_execz .LBB4_113
; %bb.99:                               ;   in Loop: Header=BB4_49 Depth=1
	s_and_saveexec_b32 s22, s4
	s_cbranch_execz .LBB4_112
; %bb.100:                              ;   in Loop: Header=BB4_49 Depth=1
	s_mov_b32 s24, exec_lo
	s_mov_b32 s23, exec_lo
	v_mbcnt_lo_u32_b32 v32, s24, 0
	global_wb scope:SCOPE_DEV
	s_wait_storecnt 0x0
	s_wait_loadcnt_dscnt 0x0
	global_inv scope:SCOPE_DEV
	v_cmpx_eq_u32_e32 0, v32
	s_cbranch_execz .LBB4_102
; %bb.101:                              ;   in Loop: Header=BB4_49 Depth=1
	s_bcnt1_i32_b32 s24, s24
	s_delay_alu instid0(SALU_CYCLE_1)
	v_mov_b32_e32 v32, s24
	s_wait_loadcnt 0x0
	ds_add_u64 v0, v[32:33]
	s_trap 2
.LBB4_102:                              ;   in Loop: Header=BB4_49 Depth=1
	s_or_b32 exec_lo, exec_lo, s23
	s_trap 2
	ds_load_b64 v[64:65], v0
	s_wait_dscnt 0x0
	v_add_nc_u64_e32 v[10:11], v[10:11], v[28:29]
	s_mov_b32 s23, exec_lo
	s_delay_alu instid0(VALU_DEP_1)
	v_cmpx_lt_u64_e64 v[64:65], v[10:11]
	s_cbranch_execz .LBB4_111
; %bb.103:                              ;   in Loop: Header=BB4_49 Depth=1
	s_mov_b32 s24, 0
	s_mov_b32 s27, 0
                                        ; implicit-def: $sgpr25
                                        ; implicit-def: $sgpr26
	s_branch .LBB4_105
.LBB4_104:                              ;   in Loop: Header=BB4_105 Depth=2
	s_or_b32 exec_lo, exec_lo, s29
	s_delay_alu instid0(SALU_CYCLE_1) | instskip(NEXT) | instid1(SALU_CYCLE_1)
	s_and_b32 s28, exec_lo, s40
	s_or_b32 s24, s28, s24
	s_and_not1_b32 s25, s25, exec_lo
	s_and_b32 s28, s26, exec_lo
	s_delay_alu instid0(SALU_CYCLE_1)
	s_or_b32 s25, s25, s28
	s_and_not1_b32 exec_lo, exec_lo, s24
	s_cbranch_execz .LBB4_109
.LBB4_105:                              ;   Parent Loop BB4_49 Depth=1
                                        ; =>  This Inner Loop Header: Depth=2
	s_add_co_i32 s27, s27, 1
	s_delay_alu instid0(SALU_CYCLE_1) | instskip(SKIP_1) | instid1(SALU_CYCLE_1)
	s_cmp_lg_u32 s27, 0x2710
	s_cselect_b32 s28, -1, 0
	s_and_b32 vcc_lo, exec_lo, s28
	s_cbranch_vccz .LBB4_107
; %bb.106:                              ;   in Loop: Header=BB4_105 Depth=2
	s_mov_b32 s40, -1
	s_or_b32 s26, s26, exec_lo
	s_and_saveexec_b32 s29, s28
	s_cbranch_execz .LBB4_104
	s_branch .LBB4_108
.LBB4_107:                              ;   in Loop: Header=BB4_105 Depth=2
	s_trap 2
	ds_load_b64 v[64:65], v0
	s_and_not1_b32 s28, s28, exec_lo
	s_mov_b32 s27, 0
	s_wait_loadcnt_dscnt 0x0
	flat_load_b32 v32, v[64:65] scope:SCOPE_SYS
	s_wait_loadcnt_dscnt 0x0
	global_inv scope:SCOPE_SYS
	v_cmp_eq_u32_e32 vcc_lo, 0, v32
	s_and_b32 s29, vcc_lo, exec_lo
	s_delay_alu instid0(SALU_CYCLE_1)
	s_or_b32 s28, s28, s29
	s_mov_b32 s40, -1
	s_or_b32 s26, s26, exec_lo
	s_and_saveexec_b32 s29, s28
	s_cbranch_execz .LBB4_104
.LBB4_108:                              ;   in Loop: Header=BB4_105 Depth=2
	s_sleep 1
	s_trap 2
	ds_load_b64 v[64:65], v0
	s_wait_dscnt 0x0
	s_and_not1_b32 s26, s26, exec_lo
	v_cmp_ge_u64_e32 vcc_lo, v[64:65], v[10:11]
	s_or_not1_b32 s40, vcc_lo, exec_lo
	s_branch .LBB4_104
.LBB4_109:                              ;   in Loop: Header=BB4_49 Depth=1
	s_or_b32 exec_lo, exec_lo, s24
	s_and_saveexec_b32 s24, s25
	s_delay_alu instid0(SALU_CYCLE_1)
	s_xor_b32 s24, exec_lo, s24
	s_cbranch_execz .LBB4_111
; %bb.110:                              ;   in Loop: Header=BB4_49 Depth=1
	ds_store_b32 v0, v85
	s_trap 2
.LBB4_111:                              ;   in Loop: Header=BB4_49 Depth=1
	s_or_b32 exec_lo, exec_lo, s23
	;;#ASMSTART
	s_wakeup
	;;#ASMEND
.LBB4_112:                              ;   in Loop: Header=BB4_49 Depth=1
	s_or_b32 exec_lo, exec_lo, s22
.LBB4_113:                              ;   in Loop: Header=BB4_49 Depth=1
	s_and_not1_saveexec_b32 s21, s21
	s_cbranch_execz .LBB4_115
; %bb.114:                              ;   in Loop: Header=BB4_49 Depth=1
	global_wb scope:SCOPE_DEV
	s_wait_storecnt 0x0
	s_wait_loadcnt_dscnt 0x0
	global_inv scope:SCOPE_DEV
	s_barrier_signal -1
	s_barrier_wait -1
.LBB4_115:                              ;   in Loop: Header=BB4_49 Depth=1
	s_or_b32 exec_lo, exec_lo, s21
.LBB4_116:                              ;   in Loop: Header=BB4_49 Depth=1
	s_delay_alu instid0(SALU_CYCLE_1)
	s_or_b32 exec_lo, exec_lo, s7
	s_trap 2
	ds_load_b64 v[64:65], v0
	s_wait_dscnt 0x0
	v_cmp_eq_u64_e32 vcc_lo, 0, v[64:65]
	s_cbranch_vccnz .LBB4_124
; %bb.117:                              ;   in Loop: Header=BB4_49 Depth=1
	s_trap 2
	ds_load_b64 v[66:67], v0
	s_wait_dscnt 0x0
	v_cmp_eq_u64_e32 vcc_lo, 0, v[66:67]
	s_cbranch_vccnz .LBB4_124
; %bb.118:                              ;   in Loop: Header=BB4_49 Depth=1
	s_mov_b32 s7, -1
	s_and_saveexec_b32 s21, s5
	s_cbranch_execz .LBB4_120
; %bb.119:                              ;   in Loop: Header=BB4_49 Depth=1
	ds_load_b32 v32, v0 offset:720
	s_wait_dscnt 0x0
	v_and_b32_e32 v32, 15, v32
	s_delay_alu instid0(VALU_DEP_1)
	v_cmp_eq_u32_e32 vcc_lo, 0, v32
	s_or_not1_b32 s7, vcc_lo, exec_lo
.LBB4_120:                              ;   in Loop: Header=BB4_49 Depth=1
	s_or_b32 exec_lo, exec_lo, s21
	s_and_saveexec_b32 s21, s6
	s_cbranch_execz .LBB4_122
; %bb.121:                              ;   in Loop: Header=BB4_49 Depth=1
	ds_load_b32 v32, v0 offset:784
	s_wait_dscnt 0x0
	v_and_b32_e32 v32, 15, v32
	s_delay_alu instid0(VALU_DEP_1) | instskip(SKIP_3) | instid1(SALU_CYCLE_1)
	v_cmp_eq_u32_e32 vcc_lo, 0, v32
	s_and_b32 s22, s7, vcc_lo
	s_and_not1_b32 s7, s7, exec_lo
	s_and_b32 s22, s22, exec_lo
	s_or_b32 s7, s7, s22
.LBB4_122:                              ;   in Loop: Header=BB4_49 Depth=1
	s_or_b32 exec_lo, exec_lo, s21
	v_cmp_eq_u32_e32 vcc_lo, 0, v68
	s_xor_b32 s7, s7, -1
	s_mov_b32 s22, -1
	v_cndmask_b32_e64 v69, 0, 1, s7
	v_dual_mov_b32 v96, 0 :: v_dual_cndmask_b32 v32, 0, v55, vcc_lo
	s_delay_alu instid0(VALU_DEP_2) | instskip(NEXT) | instid1(VALU_DEP_2)
	v_cmp_ne_u32_e32 vcc_lo, 0, v69
	v_lshlrev_b32_e32 v87, 3, v32
	s_cbranch_vccz .LBB4_125
; %bb.123:                              ;   in Loop: Header=BB4_49 Depth=1
	v_dual_mov_b32 v97, v0 :: v_dual_mov_b32 v68, v83
	s_and_saveexec_b32 s7, s22
	s_cbranch_execnz .LBB4_138
	s_branch .LBB4_146
.LBB4_124:                              ;   in Loop: Header=BB4_49 Depth=1
	s_mov_b32 s7, 0
	s_and_saveexec_b32 s21, s2
	s_cbranch_execnz .LBB4_147
	s_branch .LBB4_165
.LBB4_125:                              ;   in Loop: Header=BB4_49 Depth=1
	v_lshrrev_b32_e32 v96, 7, v32
	s_mov_b32 s7, exec_lo
	s_delay_alu instid0(VALU_DEP_1) | instskip(NEXT) | instid1(VALU_DEP_1)
	v_sub_nc_u32_e32 v99, v96, v83
	v_cmpx_lt_i32_e32 0, v99
	s_cbranch_execz .LBB4_129
; %bb.126:                              ;   in Loop: Header=BB4_49 Depth=1
	s_trap 2
	ds_load_b64 v[70:71], v0
	v_add_nc_u64_e32 v[68:69], v[64:65], v[38:39]
	v_add_nc_u64_e32 v[80:81], v[66:67], v[38:39]
	s_mov_b32 s21, 0
	s_wait_dscnt 0x0
	v_add_nc_u64_e32 v[70:71], v[70:71], v[38:39]
.LBB4_127:                              ;   Parent Loop BB4_49 Depth=1
                                        ; =>  This Inner Loop Header: Depth=2
	global_load_b128 v[100:103], v[70:71], off th:TH_LOAD_NT
	s_clause 0x1
	global_load_b128 v[112:115], v[68:69], off th:TH_LOAD_NT
	global_load_b128 v[116:119], v[68:69], off offset:512 th:TH_LOAD_NT
	global_load_b128 v[40:43], v[70:71], off offset:512 th:TH_LOAD_NT
	v_sub_nc_u32_e32 v99, v99, v28
	s_wait_xcnt 0x1
	v_add_nc_u64_e32 v[68:69], v[68:69], v[34:35]
	s_wait_xcnt 0x0
	v_add_nc_u64_e32 v[70:71], v[70:71], v[34:35]
	v_cmp_gt_i32_e32 vcc_lo, 1, v99
	s_or_b32 s21, vcc_lo, s21
	s_wait_loadcnt 0x2
	v_mul_u64_e32 v[100:101], v[100:101], v[112:113]
	v_mul_u64_e32 v[102:103], v[102:103], v[114:115]
	s_wait_loadcnt 0x0
	v_mul_u64_e32 v[112:113], v[40:41], v[116:117]
	v_mul_u64_e32 v[114:115], v[42:43], v[118:119]
	s_clause 0x1
	global_store_b128 v[80:81], v[100:103], off th:TH_STORE_NT
	global_store_b128 v[80:81], v[112:115], off offset:512 th:TH_STORE_NT
	s_wait_xcnt 0x0
	v_add_nc_u64_e32 v[80:81], v[80:81], v[34:35]
	s_and_not1_b32 exec_lo, exec_lo, s21
	s_cbranch_execnz .LBB4_127
; %bb.128:                              ;   in Loop: Header=BB4_49 Depth=1
	s_or_b32 exec_lo, exec_lo, s21
.LBB4_129:                              ;   in Loop: Header=BB4_49 Depth=1
	s_delay_alu instid0(SALU_CYCLE_1) | instskip(SKIP_3) | instid1(VALU_DEP_1)
	s_or_b32 exec_lo, exec_lo, s7
	v_dual_lshlrev_b32 v98, 10, v96 :: v_dual_mov_b32 v96, 0
	s_mov_b32 s22, 0
	s_mov_b32 s21, exec_lo
                                        ; implicit-def: $vgpr97
                                        ; implicit-def: $vgpr68
	v_cmpx_ne_u32_e64 v87, v98
	s_cbranch_execz .LBB4_137
; %bb.130:                              ;   in Loop: Header=BB4_49 Depth=1
	v_dual_lshlrev_b32 v68, 5, v99 :: v_dual_sub_nc_u32 v70, v87, v98
	s_mov_b32 s22, exec_lo
	s_delay_alu instid0(VALU_DEP_1) | instskip(NEXT) | instid1(VALU_DEP_1)
	v_dual_sub_nc_u32 v68, v84, v68 :: v_dual_ashrrev_i32 v71, 31, v70
	v_dual_ashrrev_i32 v69, 31, v68 :: v_dual_lshrrev_b32 v71, 23, v71
	s_delay_alu instid0(VALU_DEP_1) | instskip(NEXT) | instid1(VALU_DEP_1)
	v_lshrrev_b32_e32 v69, 27, v69
	v_add_nc_u32_e32 v69, v68, v69
	s_delay_alu instid0(VALU_DEP_1) | instskip(NEXT) | instid1(VALU_DEP_1)
	v_and_b32_e32 v80, 0xffffffe0, v69
	v_dual_add_nc_u32 v71, v70, v71 :: v_dual_sub_nc_u32 v100, v68, v80
	s_delay_alu instid0(VALU_DEP_1) | instskip(SKIP_1) | instid1(VALU_DEP_3)
	v_and_b32_e32 v99, 0xfffffe00, v71
	v_dual_ashrrev_i32 v69, 5, v69 :: v_dual_ashrrev_i32 v71, 9, v71
	v_lshlrev_b32_e32 v68, 4, v100
	s_delay_alu instid0(VALU_DEP_1) | instskip(NEXT) | instid1(VALU_DEP_1)
	v_lshl_add_u32 v68, v69, 9, v68
	v_dual_sub_nc_u32 v101, v70, v99 :: v_dual_sub_nc_u32 v96, v70, v68
	s_delay_alu instid0(VALU_DEP_1) | instskip(SKIP_1) | instid1(VALU_DEP_1)
	v_cmp_lt_i32_e32 vcc_lo, 15, v101
	v_add_co_ci_u32_e64 v71, null, 0, v71, vcc_lo
	v_sub_nc_u32_e32 v102, v71, v69
	s_delay_alu instid0(VALU_DEP_4)
	v_cmpx_lt_i32_e32 15, v96
	s_cbranch_execz .LBB4_134
; %bb.131:                              ;   in Loop: Header=BB4_49 Depth=1
	s_trap 2
	ds_load_b64 v[70:71], v0
	v_add_nc_u32_e32 v80, v68, v98
	s_mov_b32 s23, 0
	s_delay_alu instid0(VALU_DEP_1) | instskip(NEXT) | instid1(VALU_DEP_1)
	v_ashrrev_i32_e32 v81, 31, v80
	v_add_nc_u64_e32 v[68:69], v[80:81], v[64:65]
	s_wait_dscnt 0x0
	v_add_nc_u64_e32 v[70:71], v[70:71], v[80:81]
	v_add_nc_u64_e32 v[80:81], v[80:81], v[66:67]
.LBB4_132:                              ;   Parent Loop BB4_49 Depth=1
                                        ; =>  This Inner Loop Header: Depth=2
	global_load_b128 v[112:115], v[68:69], off th:TH_LOAD_NT
	global_load_b128 v[116:119], v[70:71], off th:TH_LOAD_NT
	v_sub_nc_u32_e32 v96, v96, v36
	s_wait_xcnt 0x1
	v_add_nc_u64_e32 v[68:69], v[68:69], v[36:37]
	s_wait_xcnt 0x0
	v_add_nc_u64_e32 v[70:71], v[70:71], v[36:37]
	v_sub_nc_u32_e32 v102, v102, v28
	v_cmp_gt_i32_e64 s7, 16, v96
	s_or_b32 s23, s7, s23
	s_wait_loadcnt 0x0
	v_mul_u64_e32 v[112:113], v[116:117], v[112:113]
	v_mul_u64_e32 v[114:115], v[118:119], v[114:115]
	global_store_b128 v[80:81], v[112:115], off th:TH_STORE_NT
	s_wait_xcnt 0x0
	v_add_nc_u64_e32 v[80:81], v[80:81], v[36:37]
	s_and_not1_b32 exec_lo, exec_lo, s23
	s_cbranch_execnz .LBB4_132
; %bb.133:                              ;   in Loop: Header=BB4_49 Depth=1
	s_or_b32 exec_lo, exec_lo, s23
.LBB4_134:                              ;   in Loop: Header=BB4_49 Depth=1
	s_delay_alu instid0(SALU_CYCLE_1) | instskip(SKIP_3) | instid1(VALU_DEP_1)
	s_or_b32 exec_lo, exec_lo, s22
	v_dual_mov_b32 v96, 0 :: v_dual_bitop2_b32 v69, 8, v87 bitop3:0x40
	s_mov_b32 s22, 0
	s_mov_b32 s23, exec_lo
                                        ; implicit-def: $vgpr97
                                        ; implicit-def: $vgpr68
	v_cndmask_b32_e32 v87, v101, v69, vcc_lo
	s_delay_alu instid0(VALU_DEP_1)
	v_cmpx_ne_u32_e32 0, v87
	s_cbranch_execz .LBB4_136
; %bb.135:                              ;   in Loop: Header=BB4_49 Depth=1
	v_cmp_lt_i32_e64 s7, 0, v102
	s_mov_b32 s22, exec_lo
	v_dual_sub_nc_u32 v69, v101, v69 :: v_dual_cndmask_b32 v68, 0, v28, s7
	s_delay_alu instid0(VALU_DEP_1) | instskip(NEXT) | instid1(VALU_DEP_1)
	v_dual_cndmask_b32 v69, 0, v69 :: v_dual_sub_nc_u32 v68, v68, v102
	v_add3_u32 v96, v99, v98, v69
	s_delay_alu instid0(VALU_DEP_2) | instskip(NEXT) | instid1(VALU_DEP_1)
	v_lshl_add_u32 v97, v68, 5, v100
	v_ashrrev_i32_e32 v68, 31, v97
	s_delay_alu instid0(VALU_DEP_1) | instskip(NEXT) | instid1(VALU_DEP_1)
	v_lshrrev_b32_e32 v68, 27, v68
	v_add_nc_u32_e32 v68, v97, v68
	s_delay_alu instid0(VALU_DEP_1)
	v_ashrrev_i32_e32 v68, 5, v68
.LBB4_136:                              ;   in Loop: Header=BB4_49 Depth=1
	s_or_b32 exec_lo, exec_lo, s23
	s_delay_alu instid0(SALU_CYCLE_1)
	s_and_b32 s22, s22, exec_lo
.LBB4_137:                              ;   in Loop: Header=BB4_49 Depth=1
	s_or_b32 exec_lo, exec_lo, s21
	s_and_saveexec_b32 s7, s22
	s_cbranch_execz .LBB4_146
.LBB4_138:                              ;   in Loop: Header=BB4_49 Depth=1
	v_ashrrev_i32_e32 v69, 31, v87
	s_mov_b32 s21, exec_lo
	s_delay_alu instid0(VALU_DEP_1) | instskip(NEXT) | instid1(VALU_DEP_1)
	v_lshrrev_b32_e32 v69, 23, v69
	v_add_nc_u32_e32 v69, v87, v69
	s_delay_alu instid0(VALU_DEP_1) | instskip(SKIP_1) | instid1(VALU_DEP_1)
	v_ashrrev_i32_e32 v100, 9, v69
	v_ashrrev_i32_e32 v69, 31, v97
	v_dual_lshrrev_b32 v99, 27, v69 :: v_dual_sub_nc_u32 v98, v100, v68
	s_delay_alu instid0(VALU_DEP_1)
	v_cmpx_lt_i32_e32 0, v98
	s_cbranch_execz .LBB4_142
; %bb.139:                              ;   in Loop: Header=BB4_49 Depth=1
	s_delay_alu instid0(VALU_DEP_2) | instskip(SKIP_4) | instid1(VALU_DEP_1)
	v_dual_add_nc_u32 v69, v97, v99 :: v_dual_lshlrev_b32 v68, 9, v68
	s_trap 2
	ds_load_b64 v[70:71], v0
	s_mov_b32 s22, 0
	v_and_b32_e32 v69, 0x1fffffe0, v69
	v_sub_nc_u32_e32 v69, v97, v69
	s_delay_alu instid0(VALU_DEP_1) | instskip(NEXT) | instid1(VALU_DEP_1)
	v_lshlrev_b32_e32 v69, 3, v69
	v_add3_u32 v80, v69, v96, v68
	s_delay_alu instid0(VALU_DEP_1) | instskip(NEXT) | instid1(VALU_DEP_1)
	v_ashrrev_i32_e32 v81, 31, v80
	v_add_nc_u64_e32 v[68:69], v[80:81], v[64:65]
	s_wait_dscnt 0x0
	v_add_nc_u64_e32 v[70:71], v[70:71], v[80:81]
	v_add_nc_u64_e32 v[80:81], v[80:81], v[66:67]
.LBB4_140:                              ;   Parent Loop BB4_49 Depth=1
                                        ; =>  This Inner Loop Header: Depth=2
	s_clause 0x1
	flat_load_b64 v[102:103], v[68:69] th:TH_LOAD_NT
	flat_load_b64 v[112:113], v[68:69] offset:256 th:TH_LOAD_NT
	s_clause 0x1
	flat_load_b64 v[114:115], v[70:71] th:TH_LOAD_NT
	flat_load_b64 v[116:117], v[70:71] offset:256 th:TH_LOAD_NT
	v_sub_nc_u32_e32 v98, v98, v28
	s_wait_xcnt 0x2
	v_add_nc_u64_e32 v[68:69], v[68:69], v[36:37]
	s_wait_xcnt 0x0
	v_add_nc_u64_e32 v[70:71], v[70:71], v[36:37]
	v_cmp_gt_i32_e32 vcc_lo, 1, v98
	s_or_b32 s22, vcc_lo, s22
	s_wait_loadcnt_dscnt 0x101
	v_mul_u64_e32 v[102:103], v[114:115], v[102:103]
	s_wait_loadcnt_dscnt 0x0
	v_mul_u64_e32 v[112:113], v[116:117], v[112:113]
	s_clause 0x1
	flat_store_b64 v[80:81], v[102:103] th:TH_STORE_NT
	flat_store_b64 v[80:81], v[112:113] offset:256 th:TH_STORE_NT
	s_wait_xcnt 0x0
	v_add_nc_u64_e32 v[80:81], v[80:81], v[36:37]
	s_and_not1_b32 exec_lo, exec_lo, s22
	s_cbranch_execnz .LBB4_140
; %bb.141:                              ;   in Loop: Header=BB4_49 Depth=1
	s_or_b32 exec_lo, exec_lo, s22
.LBB4_142:                              ;   in Loop: Header=BB4_49 Depth=1
	s_delay_alu instid0(SALU_CYCLE_1) | instskip(SKIP_1) | instid1(VALU_DEP_1)
	s_or_b32 exec_lo, exec_lo, s21
	v_lshlrev_b32_e32 v68, 9, v100
	v_cmp_ne_u32_e32 vcc_lo, v87, v68
	s_and_b32 exec_lo, exec_lo, vcc_lo
	s_cbranch_execz .LBB4_146
; %bb.143:                              ;   in Loop: Header=BB4_49 Depth=1
	v_dual_add_nc_u32 v69, v97, v99 :: v_dual_lshlrev_b32 v70, 5, v98
	s_delay_alu instid0(VALU_DEP_1) | instskip(NEXT) | instid1(VALU_DEP_1)
	v_and_b32_e32 v69, 0xffffffe0, v69
	v_sub_nc_u32_e32 v69, v97, v69
	s_delay_alu instid0(VALU_DEP_1) | instskip(NEXT) | instid1(VALU_DEP_1)
	v_sub_nc_u32_e32 v69, v69, v70
	v_ashrrev_i32_e32 v70, 31, v69
	s_delay_alu instid0(VALU_DEP_1) | instskip(NEXT) | instid1(VALU_DEP_1)
	v_lshrrev_b32_e32 v70, 27, v70
	v_add_nc_u32_e32 v70, v69, v70
	s_delay_alu instid0(VALU_DEP_1) | instskip(NEXT) | instid1(VALU_DEP_1)
	v_and_b32_e32 v71, 0x1fffffe0, v70
	v_dual_lshlrev_b32 v70, 3, v70 :: v_dual_sub_nc_u32 v69, v69, v71
	s_delay_alu instid0(VALU_DEP_1) | instskip(NEXT) | instid1(VALU_DEP_2)
	v_and_b32_e32 v70, 0xffffff00, v70
	v_lshlrev_b32_e32 v69, 3, v69
	s_delay_alu instid0(VALU_DEP_1) | instskip(NEXT) | instid1(VALU_DEP_1)
	v_add3_u32 v68, v70, v69, v68
	v_sub_nc_u32_e32 v70, v87, v68
	s_delay_alu instid0(VALU_DEP_1)
	v_cmp_lt_i32_e32 vcc_lo, 7, v70
	s_and_b32 exec_lo, exec_lo, vcc_lo
	s_cbranch_execz .LBB4_146
; %bb.144:                              ;   in Loop: Header=BB4_49 Depth=1
	s_trap 2
	ds_load_b64 v[80:81], v0
	v_add_nc_u32_e32 v96, v68, v96
	s_mov_b32 s21, 0
	s_delay_alu instid0(VALU_DEP_1) | instskip(NEXT) | instid1(VALU_DEP_1)
	v_ashrrev_i32_e32 v97, 31, v96
	v_add_nc_u64_e32 v[64:65], v[96:97], v[64:65]
	v_add_nc_u64_e32 v[66:67], v[96:97], v[66:67]
	s_wait_dscnt 0x0
	v_add_nc_u64_e32 v[68:69], v[80:81], v[96:97]
.LBB4_145:                              ;   Parent Loop BB4_49 Depth=1
                                        ; =>  This Inner Loop Header: Depth=2
	flat_load_b64 v[80:81], v[64:65] th:TH_LOAD_NT
	flat_load_b64 v[96:97], v[68:69] th:TH_LOAD_NT
	v_sub_nc_u32_e32 v70, v70, v48
	s_wait_xcnt 0x1
	v_add_nc_u64_e32 v[64:65], v[64:65], v[48:49]
	s_wait_xcnt 0x0
	v_add_nc_u64_e32 v[68:69], v[68:69], v[48:49]
	v_cmp_gt_i32_e32 vcc_lo, 8, v70
	s_or_b32 s21, vcc_lo, s21
	s_wait_loadcnt_dscnt 0x0
	v_mul_u64_e32 v[80:81], v[96:97], v[80:81]
	flat_store_b64 v[66:67], v[80:81] th:TH_STORE_NT
	s_wait_xcnt 0x0
	v_add_nc_u64_e32 v[66:67], v[66:67], v[48:49]
	s_and_not1_b32 exec_lo, exec_lo, s21
	s_cbranch_execnz .LBB4_145
.LBB4_146:                              ;   in Loop: Header=BB4_49 Depth=1
	s_or_b32 exec_lo, exec_lo, s7
	v_cmp_ne_u32_e64 s7, 0, v32
	s_and_saveexec_b32 s21, s2
	s_cbranch_execz .LBB4_165
.LBB4_147:                              ;   in Loop: Header=BB4_49 Depth=1
	s_and_saveexec_b32 s22, s3
	s_delay_alu instid0(SALU_CYCLE_1)
	s_xor_b32 s22, exec_lo, s22
	s_cbranch_execz .LBB4_162
; %bb.148:                              ;   in Loop: Header=BB4_49 Depth=1
	s_and_saveexec_b32 s23, s4
	s_cbranch_execz .LBB4_161
; %bb.149:                              ;   in Loop: Header=BB4_49 Depth=1
	s_mov_b32 s25, exec_lo
	s_mov_b32 s24, exec_lo
	v_mbcnt_lo_u32_b32 v32, s25, 0
	global_wb scope:SCOPE_DEV
	s_wait_storecnt 0x0
	s_wait_loadcnt_dscnt 0x0
	global_inv scope:SCOPE_DEV
	v_cmpx_eq_u32_e32 0, v32
	s_cbranch_execz .LBB4_151
; %bb.150:                              ;   in Loop: Header=BB4_49 Depth=1
	s_bcnt1_i32_b32 s25, s25
	s_delay_alu instid0(SALU_CYCLE_1)
	v_mov_b32_e32 v32, s25
	s_wait_loadcnt 0x0
	ds_add_u64 v0, v[32:33]
	s_trap 2
.LBB4_151:                              ;   in Loop: Header=BB4_49 Depth=1
	s_or_b32 exec_lo, exec_lo, s24
	s_trap 2
	ds_load_b64 v[64:65], v0
	s_wait_dscnt 0x0
	v_add_nc_u64_e32 v[10:11], v[10:11], v[28:29]
	s_mov_b32 s24, exec_lo
	s_delay_alu instid0(VALU_DEP_1)
	v_cmpx_lt_u64_e64 v[64:65], v[10:11]
	s_cbranch_execz .LBB4_160
; %bb.152:                              ;   in Loop: Header=BB4_49 Depth=1
	s_mov_b32 s25, 0
	s_mov_b32 s28, 0
                                        ; implicit-def: $sgpr26
                                        ; implicit-def: $sgpr27
	s_branch .LBB4_154
.LBB4_153:                              ;   in Loop: Header=BB4_154 Depth=2
	s_or_b32 exec_lo, exec_lo, s40
	s_delay_alu instid0(SALU_CYCLE_1) | instskip(NEXT) | instid1(SALU_CYCLE_1)
	s_and_b32 s29, exec_lo, s41
	s_or_b32 s25, s29, s25
	s_and_not1_b32 s26, s26, exec_lo
	s_and_b32 s29, s27, exec_lo
	s_delay_alu instid0(SALU_CYCLE_1)
	s_or_b32 s26, s26, s29
	s_and_not1_b32 exec_lo, exec_lo, s25
	s_cbranch_execz .LBB4_158
.LBB4_154:                              ;   Parent Loop BB4_49 Depth=1
                                        ; =>  This Inner Loop Header: Depth=2
	s_add_co_i32 s28, s28, 1
	s_delay_alu instid0(SALU_CYCLE_1) | instskip(SKIP_1) | instid1(SALU_CYCLE_1)
	s_cmp_lg_u32 s28, 0x2710
	s_cselect_b32 s29, -1, 0
	s_and_b32 vcc_lo, exec_lo, s29
	s_cbranch_vccz .LBB4_156
; %bb.155:                              ;   in Loop: Header=BB4_154 Depth=2
	s_mov_b32 s41, -1
	s_or_b32 s27, s27, exec_lo
	s_and_saveexec_b32 s40, s29
	s_cbranch_execz .LBB4_153
	s_branch .LBB4_157
.LBB4_156:                              ;   in Loop: Header=BB4_154 Depth=2
	s_trap 2
	ds_load_b64 v[64:65], v0
	s_and_not1_b32 s29, s29, exec_lo
	s_mov_b32 s28, 0
	s_wait_loadcnt_dscnt 0x0
	flat_load_b32 v32, v[64:65] scope:SCOPE_SYS
	s_wait_loadcnt_dscnt 0x0
	global_inv scope:SCOPE_SYS
	v_cmp_eq_u32_e32 vcc_lo, 0, v32
	s_and_b32 s40, vcc_lo, exec_lo
	s_delay_alu instid0(SALU_CYCLE_1)
	s_or_b32 s29, s29, s40
	s_mov_b32 s41, -1
	s_or_b32 s27, s27, exec_lo
	s_and_saveexec_b32 s40, s29
	s_cbranch_execz .LBB4_153
.LBB4_157:                              ;   in Loop: Header=BB4_154 Depth=2
	s_sleep 1
	s_trap 2
	ds_load_b64 v[64:65], v0
	s_wait_dscnt 0x0
	s_and_not1_b32 s27, s27, exec_lo
	v_cmp_ge_u64_e32 vcc_lo, v[64:65], v[10:11]
	s_or_not1_b32 s41, vcc_lo, exec_lo
	s_branch .LBB4_153
.LBB4_158:                              ;   in Loop: Header=BB4_49 Depth=1
	s_or_b32 exec_lo, exec_lo, s25
	s_and_saveexec_b32 s25, s26
	s_delay_alu instid0(SALU_CYCLE_1)
	s_xor_b32 s25, exec_lo, s25
	s_cbranch_execz .LBB4_160
; %bb.159:                              ;   in Loop: Header=BB4_49 Depth=1
	ds_store_b32 v0, v85
	s_trap 2
.LBB4_160:                              ;   in Loop: Header=BB4_49 Depth=1
	s_or_b32 exec_lo, exec_lo, s24
	;;#ASMSTART
	s_wakeup
	;;#ASMEND
.LBB4_161:                              ;   in Loop: Header=BB4_49 Depth=1
	s_or_b32 exec_lo, exec_lo, s23
.LBB4_162:                              ;   in Loop: Header=BB4_49 Depth=1
	s_and_not1_saveexec_b32 s22, s22
	s_cbranch_execz .LBB4_164
; %bb.163:                              ;   in Loop: Header=BB4_49 Depth=1
	global_wb scope:SCOPE_DEV
	s_wait_storecnt 0x0
	s_wait_loadcnt_dscnt 0x0
	global_inv scope:SCOPE_DEV
	s_barrier_signal -1
	s_barrier_wait -1
.LBB4_164:                              ;   in Loop: Header=BB4_49 Depth=1
	s_or_b32 exec_lo, exec_lo, s22
.LBB4_165:                              ;   in Loop: Header=BB4_49 Depth=1
	s_delay_alu instid0(SALU_CYCLE_1) | instskip(SKIP_1) | instid1(VALU_DEP_1)
	s_or_b32 exec_lo, exec_lo, s21
	v_and_b32_e32 v32, 16, v30
	v_cmp_ne_u32_e32 vcc_lo, 0, v32
	s_and_b32 s21, vcc_lo, s7
	s_delay_alu instid0(SALU_CYCLE_1)
	s_and_saveexec_b32 s7, s21
	s_cbranch_execz .LBB4_167
; %bb.166:                              ;   in Loop: Header=BB4_49 Depth=1
	global_wb scope:SCOPE_SYS
	s_wait_storecnt 0x0
	s_wait_loadcnt_dscnt 0x0
	global_inv scope:SCOPE_SYS
.LBB4_167:                              ;   in Loop: Header=BB4_49 Depth=1
	s_or_b32 exec_lo, exec_lo, s7
	v_cmp_ne_u32_e32 vcc_lo, 0, v32
	s_and_b32 s21, vcc_lo, s18
	s_delay_alu instid0(SALU_CYCLE_1)
	s_and_saveexec_b32 s7, s21
	s_cbranch_execz .LBB4_169
; %bb.168:                              ;   in Loop: Header=BB4_49 Depth=1
	global_wb scope:SCOPE_SYS
	s_wait_storecnt 0x0
	s_wait_loadcnt_dscnt 0x0
	flat_store_b32 v[26:27], v85 scope:SCOPE_SYS
.LBB4_169:                              ;   in Loop: Header=BB4_49 Depth=1
	s_wait_xcnt 0x0
	s_or_b32 exec_lo, exec_lo, s7
	v_and_b32_e32 v32, 48, v30
	s_mov_b32 s7, exec_lo
	s_delay_alu instid0(VALU_DEP_1)
	v_cmpx_ne_u32_e32 0, v32
	s_cbranch_execz .LBB4_171
; %bb.170:                              ;   in Loop: Header=BB4_49 Depth=1
	v_add_nc_u64_e32 v[8:9], 1, v[8:9]
	global_wb scope:SCOPE_SYS
	s_wait_storecnt 0x0
	s_wait_loadcnt_dscnt 0x0
	flat_store_b64 v[18:19], v[8:9] scope:SCOPE_SYS
.LBB4_171:                              ;   in Loop: Header=BB4_49 Depth=1
	s_wait_xcnt 0x0
	s_or_b32 exec_lo, exec_lo, s7
	v_mov_b32_e32 v32, v55
.LBB4_172:                              ;   in Loop: Header=BB4_49 Depth=1
	s_or_b32 exec_lo, exec_lo, s20
	s_and_saveexec_b32 s20, s19
	s_cbranch_execz .LBB4_48
; %bb.173:                              ;   in Loop: Header=BB4_49 Depth=1
	s_delay_alu instid0(VALU_DEP_1) | instskip(SKIP_1) | instid1(VALU_DEP_1)
	v_dual_sub_nc_u32 v32, v54, v32 :: v_dual_bitop2_b32 v64, 12, v30 bitop3:0x40
	s_mov_b32 s19, exec_lo
	v_min_i32_e32 v54, v55, v32
	s_delay_alu instid0(VALU_DEP_2)
	v_cmpx_ne_u32_e32 0, v64
	s_cbranch_execz .LBB4_199
; %bb.174:                              ;   in Loop: Header=BB4_49 Depth=1
	v_and_b32_e32 v32, 8, v30
	v_add_nc_u64_e32 v[64:65], 1, v[8:9]
	s_mov_b32 s21, exec_lo
	s_wait_loadcnt 0x0
	s_delay_alu instid0(VALU_DEP_2) | instskip(NEXT) | instid1(VALU_DEP_1)
	v_add_nc_u64_e32 v[66:67], v[24:25], v[32:33]
	v_cmpx_lt_u64_e64 v[66:67], v[64:65]
	s_cbranch_execz .LBB4_186
; %bb.175:                              ;   in Loop: Header=BB4_49 Depth=1
	v_and_b32_e32 v9, 64, v30
	s_mov_b32 s22, 0
	s_mov_b32 s26, 0
                                        ; implicit-def: $sgpr23
                                        ; implicit-def: $sgpr24
                                        ; implicit-def: $sgpr25
	s_delay_alu instid0(VALU_DEP_1)
	v_cmp_eq_u32_e32 vcc_lo, 0, v9
	s_branch .LBB4_179
.LBB4_176:                              ;   in Loop: Header=BB4_179 Depth=2
	s_wait_loadcnt_dscnt 0x0
	v_add_nc_u64_e32 v[66:67], v[24:25], v[32:33]
	s_or_b32 s29, s29, exec_lo
	s_delay_alu instid0(VALU_DEP_1)
	v_cmp_ge_u64_e64 s7, v[66:67], v[64:65]
	s_or_not1_b32 s28, s7, exec_lo
.LBB4_177:                              ;   in Loop: Header=BB4_179 Depth=2
	s_or_b32 exec_lo, exec_lo, s41
	s_delay_alu instid0(SALU_CYCLE_1)
	s_and_not1_b32 s7, s25, exec_lo
	s_and_b32 s25, s29, exec_lo
	s_and_not1_b32 s24, s24, exec_lo
	s_and_b32 s28, s28, exec_lo
	s_or_b32 s25, s7, s25
	s_or_b32 s24, s24, s28
.LBB4_178:                              ;   in Loop: Header=BB4_179 Depth=2
	s_or_b32 exec_lo, exec_lo, s27
	s_delay_alu instid0(SALU_CYCLE_1) | instskip(NEXT) | instid1(SALU_CYCLE_1)
	s_and_b32 s7, exec_lo, s24
	s_or_b32 s22, s7, s22
	s_and_not1_b32 s7, s23, exec_lo
	s_and_b32 s23, s25, exec_lo
	s_delay_alu instid0(SALU_CYCLE_1)
	s_or_b32 s23, s7, s23
	s_and_not1_b32 exec_lo, exec_lo, s22
	s_cbranch_execz .LBB4_183
.LBB4_179:                              ;   Parent Loop BB4_49 Depth=1
                                        ; =>  This Inner Loop Header: Depth=2
	s_sleep 1
	s_wait_loadcnt_dscnt 0x0
	flat_load_b64 v[24:25], v[18:19] scope:SCOPE_SYS
	s_or_b32 s25, s25, exec_lo
	s_or_b32 s24, s24, exec_lo
                                        ; implicit-def: $vgpr9
	s_wait_xcnt 0x0
	s_and_saveexec_b32 s27, vcc_lo
	s_cbranch_execz .LBB4_178
; %bb.180:                              ;   in Loop: Header=BB4_179 Depth=2
	s_cmp_lt_i32 s26, 0x270f
	s_mov_b32 s28, -1
	s_cselect_b32 s40, -1, 0
	s_cmp_gt_i32 s26, 0x270e
	s_cbranch_scc0 .LBB4_182
; %bb.181:                              ;   in Loop: Header=BB4_179 Depth=2
	s_trap 2
	ds_load_b64 v[66:67], v0
	s_and_not1_b32 s26, s40, exec_lo
	s_mov_b32 s29, 0
	s_wait_storecnt 0x0
	s_wait_loadcnt_dscnt 0x0
	flat_load_b32 v9, v[66:67] scope:SCOPE_SYS
	s_wait_loadcnt_dscnt 0x0
	global_inv scope:SCOPE_SYS
	v_cmp_eq_u32_e64 s7, 0, v9
	s_and_b32 s7, s7, exec_lo
	s_delay_alu instid0(SALU_CYCLE_1)
	s_or_b32 s40, s26, s7
	s_mov_b32 s26, 0
	s_and_saveexec_b32 s41, s40
	s_cbranch_execz .LBB4_177
	s_branch .LBB4_176
.LBB4_182:                              ;   in Loop: Header=BB4_179 Depth=2
	s_add_co_i32 s26, s26, 1
	s_mov_b32 s29, -1
                                        ; implicit-def: $vgpr9
	s_and_saveexec_b32 s41, s40
	s_cbranch_execz .LBB4_177
	s_branch .LBB4_176
.LBB4_183:                              ;   in Loop: Header=BB4_49 Depth=1
	s_or_b32 exec_lo, exec_lo, s22
	s_xor_b32 s7, s23, -1
	s_delay_alu instid0(SALU_CYCLE_1) | instskip(NEXT) | instid1(SALU_CYCLE_1)
	s_and_saveexec_b32 s22, s7
	s_xor_b32 s7, exec_lo, s22
	s_cbranch_execz .LBB4_185
; %bb.184:                              ;   in Loop: Header=BB4_49 Depth=1
	v_or_b32_e32 v30, 64, v30
	s_wait_storecnt 0x0
	s_wait_loadcnt_dscnt 0x0
	ds_store_b32 v0, v9
	s_trap 2
.LBB4_185:                              ;   in Loop: Header=BB4_49 Depth=1
	s_or_b32 exec_lo, exec_lo, s7
.LBB4_186:                              ;   in Loop: Header=BB4_49 Depth=1
	s_delay_alu instid0(SALU_CYCLE_1) | instskip(SKIP_2) | instid1(VALU_DEP_1)
	s_or_b32 exec_lo, exec_lo, s21
	v_and_b32_e32 v9, 0x108, v30
	;;#ASMSTART
	s_wakeup
	;;#ASMEND
	v_cmp_ne_u32_e32 vcc_lo, 0x108, v9
	v_and_b32_e32 v8, 7, v8
	s_and_saveexec_b32 s7, vcc_lo
	s_delay_alu instid0(SALU_CYCLE_1)
	s_xor_b32 s7, exec_lo, s7
; %bb.187:                              ;   in Loop: Header=BB4_49 Depth=1
	v_mov_b32_e32 v9, v33
; %bb.188:                              ;   in Loop: Header=BB4_49 Depth=1
	s_and_not1_saveexec_b32 s7, s7
	s_cbranch_execz .LBB4_190
; %bb.189:                              ;   in Loop: Header=BB4_49 Depth=1
	v_dual_ashrrev_i32 v55, 31, v54 :: v_dual_mov_b32 v9, v33
	v_mad_nc_u64_u32 v[66:67], v8, 24, v[6:7]
	s_delay_alu instid0(VALU_DEP_2)
	v_lshlrev_b64_e32 v[68:69], 3, v[54:55]
	flat_store_b64 v[66:67], v[68:69] offset:8
.LBB4_190:                              ;   in Loop: Header=BB4_49 Depth=1
	s_wait_xcnt 0x0
	s_or_b32 exec_lo, exec_lo, s7
	v_and_b32_e32 v55, 0x100, v30
	s_mov_b32 s7, -1
	s_mov_b32 s21, exec_lo
                                        ; implicit-def: $vgpr66_vgpr67
	s_delay_alu instid0(VALU_DEP_1)
	v_cmpx_ne_u32_e32 0, v55
	s_cbranch_execz .LBB4_194
; %bb.191:                              ;   in Loop: Header=BB4_49 Depth=1
	v_mad_nc_u64_u32 v[68:69], v8, 24, v[6:7]
	s_mov_b32 s22, exec_lo
                                        ; implicit-def: $vgpr66_vgpr67
	s_delay_alu instid0(VALU_DEP_1)
	v_mad_u32 v69, v9, 24, v69
	flat_load_b32 v55, v[68:69]
	s_wait_loadcnt_dscnt 0x0
	v_cmp_ne_u32_e32 vcc_lo, 1, v55
	s_wait_xcnt 0x0
	v_cmpx_eq_u32_e32 1, v55
	s_cbranch_execz .LBB4_193
; %bb.192:                              ;   in Loop: Header=BB4_49 Depth=1
	flat_load_b32 v66, v[68:69] offset:4 scope:SCOPE_SYS
	s_wait_loadcnt_dscnt 0x0
	v_ashrrev_i32_e32 v67, 31, v66
	s_delay_alu instid0(VALU_DEP_1)
	v_lshrrev_b64 v[66:67], 3, v[66:67]
.LBB4_193:                              ;   in Loop: Header=BB4_49 Depth=1
	s_wait_xcnt 0x0
	s_or_b32 exec_lo, exec_lo, s22
	s_delay_alu instid0(SALU_CYCLE_1)
	s_or_not1_b32 s7, vcc_lo, exec_lo
.LBB4_194:                              ;   in Loop: Header=BB4_49 Depth=1
	s_or_b32 exec_lo, exec_lo, s21
	s_and_saveexec_b32 s21, s7
; %bb.195:                              ;   in Loop: Header=BB4_49 Depth=1
	v_mul_u64_e32 v[66:67], v[8:9], v[20:21]
; %bb.196:                              ;   in Loop: Header=BB4_49 Depth=1
	s_or_b32 exec_lo, exec_lo, s21
	v_cmp_eq_u32_e32 vcc_lo, 0, v32
	v_and_b32_e32 v55, 0x2000, v30
	s_delay_alu instid0(VALU_DEP_3) | instskip(SKIP_2) | instid1(VALU_DEP_1)
	v_lshl_add_u64 v[8:9], v[66:67], 3, v[22:23]
	s_mov_b32 s7, exec_lo
	v_cndmask_b32_e32 v32, 0xc8, v86, vcc_lo
	v_add_nc_u32_e32 v32, v0, v32
	ds_store_b64 v32, v[8:9] offset:584
	v_cmpx_ne_u32_e32 0, v55
	s_cbranch_execz .LBB4_198
; %bb.197:                              ;   in Loop: Header=BB4_49 Depth=1
	ds_load_b64 v[8:9], v0 offset:872
	s_wait_dscnt 0x0
	v_add_nc_u64_e32 v[8:9], 1, v[8:9]
	ds_store_b64 v0, v[8:9] offset:872
.LBB4_198:                              ;   in Loop: Header=BB4_49 Depth=1
	s_or_b32 exec_lo, exec_lo, s7
	v_mov_b64_e32 v[8:9], v[64:65]
.LBB4_199:                              ;   in Loop: Header=BB4_49 Depth=1
	s_or_b32 exec_lo, exec_lo, s19
	s_and_saveexec_b32 s7, s2
	s_cbranch_execz .LBB4_218
; %bb.200:                              ;   in Loop: Header=BB4_49 Depth=1
	s_and_saveexec_b32 s19, s3
	s_delay_alu instid0(SALU_CYCLE_1)
	s_xor_b32 s19, exec_lo, s19
	s_cbranch_execz .LBB4_215
; %bb.201:                              ;   in Loop: Header=BB4_49 Depth=1
	s_and_saveexec_b32 s21, s4
	s_cbranch_execz .LBB4_214
; %bb.202:                              ;   in Loop: Header=BB4_49 Depth=1
	s_mov_b32 s23, exec_lo
	s_mov_b32 s22, exec_lo
	v_mbcnt_lo_u32_b32 v32, s23, 0
	global_wb scope:SCOPE_DEV
	s_wait_storecnt 0x0
	s_wait_loadcnt_dscnt 0x0
	global_inv scope:SCOPE_DEV
	v_cmpx_eq_u32_e32 0, v32
	s_cbranch_execz .LBB4_204
; %bb.203:                              ;   in Loop: Header=BB4_49 Depth=1
	s_bcnt1_i32_b32 s23, s23
	s_delay_alu instid0(SALU_CYCLE_1)
	v_mov_b32_e32 v32, s23
	s_wait_loadcnt 0x0
	ds_add_u64 v0, v[32:33]
	s_trap 2
.LBB4_204:                              ;   in Loop: Header=BB4_49 Depth=1
	s_or_b32 exec_lo, exec_lo, s22
	s_trap 2
	ds_load_b64 v[64:65], v0
	s_wait_dscnt 0x0
	v_add_nc_u64_e32 v[10:11], v[10:11], v[28:29]
	s_mov_b32 s22, exec_lo
	s_delay_alu instid0(VALU_DEP_1)
	v_cmpx_lt_u64_e64 v[64:65], v[10:11]
	s_cbranch_execz .LBB4_213
; %bb.205:                              ;   in Loop: Header=BB4_49 Depth=1
	s_mov_b32 s23, 0
	s_mov_b32 s26, 0
                                        ; implicit-def: $sgpr24
                                        ; implicit-def: $sgpr25
	s_branch .LBB4_207
.LBB4_206:                              ;   in Loop: Header=BB4_207 Depth=2
	s_or_b32 exec_lo, exec_lo, s28
	s_delay_alu instid0(SALU_CYCLE_1) | instskip(NEXT) | instid1(SALU_CYCLE_1)
	s_and_b32 s27, exec_lo, s29
	s_or_b32 s23, s27, s23
	s_and_not1_b32 s24, s24, exec_lo
	s_and_b32 s27, s25, exec_lo
	s_delay_alu instid0(SALU_CYCLE_1)
	s_or_b32 s24, s24, s27
	s_and_not1_b32 exec_lo, exec_lo, s23
	s_cbranch_execz .LBB4_211
.LBB4_207:                              ;   Parent Loop BB4_49 Depth=1
                                        ; =>  This Inner Loop Header: Depth=2
	s_add_co_i32 s26, s26, 1
	s_delay_alu instid0(SALU_CYCLE_1) | instskip(SKIP_1) | instid1(SALU_CYCLE_1)
	s_cmp_lg_u32 s26, 0x2710
	s_cselect_b32 s27, -1, 0
	s_and_b32 vcc_lo, exec_lo, s27
	s_cbranch_vccz .LBB4_209
; %bb.208:                              ;   in Loop: Header=BB4_207 Depth=2
	s_mov_b32 s29, -1
	s_or_b32 s25, s25, exec_lo
	s_and_saveexec_b32 s28, s27
	s_cbranch_execz .LBB4_206
	s_branch .LBB4_210
.LBB4_209:                              ;   in Loop: Header=BB4_207 Depth=2
	s_trap 2
	ds_load_b64 v[64:65], v0
	s_and_not1_b32 s27, s27, exec_lo
	s_mov_b32 s26, 0
	s_wait_loadcnt_dscnt 0x0
	flat_load_b32 v32, v[64:65] scope:SCOPE_SYS
	s_wait_loadcnt_dscnt 0x0
	global_inv scope:SCOPE_SYS
	v_cmp_eq_u32_e32 vcc_lo, 0, v32
	s_and_b32 s28, vcc_lo, exec_lo
	s_delay_alu instid0(SALU_CYCLE_1)
	s_or_b32 s27, s27, s28
	s_mov_b32 s29, -1
	s_or_b32 s25, s25, exec_lo
	s_and_saveexec_b32 s28, s27
	s_cbranch_execz .LBB4_206
.LBB4_210:                              ;   in Loop: Header=BB4_207 Depth=2
	s_sleep 1
	s_trap 2
	ds_load_b64 v[64:65], v0
	s_wait_dscnt 0x0
	s_and_not1_b32 s25, s25, exec_lo
	v_cmp_ge_u64_e32 vcc_lo, v[64:65], v[10:11]
	s_or_not1_b32 s29, vcc_lo, exec_lo
	s_branch .LBB4_206
.LBB4_211:                              ;   in Loop: Header=BB4_49 Depth=1
	s_or_b32 exec_lo, exec_lo, s23
	s_and_saveexec_b32 s23, s24
	s_delay_alu instid0(SALU_CYCLE_1)
	s_xor_b32 s23, exec_lo, s23
	s_cbranch_execz .LBB4_213
; %bb.212:                              ;   in Loop: Header=BB4_49 Depth=1
	ds_store_b32 v0, v85
	s_trap 2
.LBB4_213:                              ;   in Loop: Header=BB4_49 Depth=1
	s_or_b32 exec_lo, exec_lo, s22
	;;#ASMSTART
	s_wakeup
	;;#ASMEND
.LBB4_214:                              ;   in Loop: Header=BB4_49 Depth=1
	s_or_b32 exec_lo, exec_lo, s21
.LBB4_215:                              ;   in Loop: Header=BB4_49 Depth=1
	s_and_not1_saveexec_b32 s19, s19
	s_cbranch_execz .LBB4_217
; %bb.216:                              ;   in Loop: Header=BB4_49 Depth=1
	global_wb scope:SCOPE_DEV
	s_wait_storecnt 0x0
	s_wait_loadcnt_dscnt 0x0
	global_inv scope:SCOPE_DEV
	s_barrier_signal -1
	s_barrier_wait -1
.LBB4_217:                              ;   in Loop: Header=BB4_49 Depth=1
	s_or_b32 exec_lo, exec_lo, s19
.LBB4_218:                              ;   in Loop: Header=BB4_49 Depth=1
	s_delay_alu instid0(SALU_CYCLE_1)
	s_or_b32 exec_lo, exec_lo, s7
	s_trap 2
	ds_load_b32 v32, v0
	v_cmp_lt_i32_e32 vcc_lo, 0, v54
	s_wait_dscnt 0x0
	v_readfirstlane_b32 s7, v32
	v_and_b32_e32 v32, 16, v30
	s_cmp_eq_u32 s7, 0
	s_delay_alu instid0(VALU_DEP_1) | instskip(SKIP_1) | instid1(SALU_CYCLE_1)
	v_cmp_ne_u32_e64 s7, 0, v32
	s_cselect_b32 s19, -1, 0
	s_and_b32 s19, vcc_lo, s19
	s_delay_alu instid0(SALU_CYCLE_1) | instskip(NEXT) | instid1(SALU_CYCLE_1)
	s_and_b32 s19, s7, s19
	s_and_saveexec_b32 s7, s19
	s_cbranch_execz .LBB4_220
; %bb.219:                              ;   in Loop: Header=BB4_49 Depth=1
	global_wb scope:SCOPE_SYS
	s_wait_loadcnt 0x0
	s_wait_storecnt 0x0
	global_inv scope:SCOPE_SYS
.LBB4_220:                              ;   in Loop: Header=BB4_49 Depth=1
	s_or_b32 exec_lo, exec_lo, s7
	v_cmp_ne_u32_e32 vcc_lo, 0, v32
	s_and_b32 s19, vcc_lo, s18
	s_delay_alu instid0(SALU_CYCLE_1)
	s_and_saveexec_b32 s7, s19
	s_cbranch_execz .LBB4_222
; %bb.221:                              ;   in Loop: Header=BB4_49 Depth=1
	global_wb scope:SCOPE_SYS
	s_wait_loadcnt 0x0
	s_wait_storecnt 0x0
	flat_store_b32 v[26:27], v85 scope:SCOPE_SYS
.LBB4_222:                              ;   in Loop: Header=BB4_49 Depth=1
	s_wait_xcnt 0x0
	s_or_b32 exec_lo, exec_lo, s7
	v_and_b32_e32 v32, 48, v30
	s_mov_b32 s7, exec_lo
	s_delay_alu instid0(VALU_DEP_1)
	v_cmpx_ne_u32_e32 0, v32
	s_cbranch_execz .LBB4_47
; %bb.223:                              ;   in Loop: Header=BB4_49 Depth=1
	v_add_nc_u64_e32 v[8:9], 1, v[8:9]
	global_wb scope:SCOPE_SYS
	s_wait_storecnt 0x0
	s_wait_loadcnt_dscnt 0x0
	flat_store_b64 v[18:19], v[8:9] scope:SCOPE_SYS
	s_branch .LBB4_47
.LBB4_224:
	s_or_b32 exec_lo, exec_lo, s16
.LBB4_225:
	s_delay_alu instid0(SALU_CYCLE_1)
	s_or_b32 exec_lo, exec_lo, s14
                                        ; implicit-def: $vgpr14_vgpr15
                                        ; implicit-def: $vgpr4_vgpr5
                                        ; implicit-def: $vgpr20
                                        ; implicit-def: $vgpr24_vgpr25
                                        ; implicit-def: $vgpr22_vgpr23
                                        ; implicit-def: $vgpr18_vgpr19
                                        ; implicit-def: $vgpr0
                                        ; implicit-def: $vgpr51
                                        ; implicit-def: $vgpr12_vgpr13
.LBB4_226:
	s_and_not1_saveexec_b32 s13, s13
	s_cbranch_execz .LBB4_396
; %bb.227:
	v_mov_b64_e32 v[10:11], 0
	s_mov_b32 s14, exec_lo
	v_cmpx_ne_u64_e32 0, v[4:5]
	s_cbranch_execz .LBB4_395
; %bb.228:
	s_wait_dscnt 0x1
	v_dual_ashrrev_i32 v10, 31, v0 :: v_dual_bitop2_b32 v27, 31, v31 bitop3:0x40
	v_dual_ashrrev_i32 v21, 31, v20 :: v_dual_mov_b32 v29, 0
	s_delay_alu instid0(VALU_DEP_2)
	v_dual_lshlrev_b32 v28, 3, v1 :: v_dual_lshrrev_b32 v10, 27, v10
	s_lshr_b32 s4, s10, 27
	v_cmp_eq_u32_e32 vcc_lo, 32, v1
	s_add_co_i32 s7, s10, s4
	v_cmp_eq_u32_e64 s4, 0, v27
	v_dual_add_nc_u32 v10, v0, v10 :: v_dual_lshrrev_b32 v26, 5, v1
	v_mov_b64_e32 v[32:33], 0
	v_cmp_ge_i32_e64 s1, v0, v1
	v_cmp_ne_u32_e64 s2, 32, v1
	s_delay_alu instid0(VALU_DEP_4)
	v_and_b32_e32 v34, 0xffffffe0, v10
	v_dual_mov_b32 v27, v29 :: v_dual_ashrrev_i32 v70, 5, v10
	v_mov_b64_e32 v[10:11], 0
	v_cmp_ne_u32_e64 s3, v1, v82
	s_wait_dscnt 0x0
	v_dual_sub_nc_u32 v71, v0, v34 :: v_dual_mov_b32 v35, v29
	v_dual_lshlrev_b32 v37, 10, v70 :: v_dual_mov_b32 v49, v29
	v_dual_lshlrev_b32 v34, 10, v26 :: v_dual_lshlrev_b32 v36, 9, v26
	v_and_b32_e32 v48, 0xff00, v28
	s_delay_alu instid0(VALU_DEP_3) | instskip(SKIP_3) | instid1(VALU_DEP_4)
	v_lshl_add_u32 v38, v71, 4, v37
	v_mov_b32_e32 v37, v29
	v_cmp_le_i32_e64 s5, v71, v51
	v_cmp_gt_i32_e64 s6, 1, v71
	v_dual_mov_b32 v80, 1 :: v_dual_ashrrev_i32 v39, 31, v38
	s_ashr_i32 s16, s7, 5
	s_mov_b32 s15, 0
	s_xor_b32 s17, vcc_lo, -1
	s_trap 2
	s_branch .LBB4_231
.LBB4_229:                              ;   in Loop: Header=BB4_231 Depth=1
	s_wait_xcnt 0x0
	s_or_b32 exec_lo, exec_lo, s7
.LBB4_230:                              ;   in Loop: Header=BB4_231 Depth=1
	s_delay_alu instid0(SALU_CYCLE_1) | instskip(SKIP_1) | instid1(VALU_DEP_1)
	s_or_b32 exec_lo, exec_lo, s19
	v_add_nc_u64_e32 v[32:33], v[32:33], v[12:13]
	v_cmp_ge_u64_e32 vcc_lo, v[32:33], v[4:5]
	s_or_b32 s15, vcc_lo, s15
	s_delay_alu instid0(SALU_CYCLE_1)
	s_and_not1_b32 exec_lo, exec_lo, s15
	s_cbranch_execz .LBB4_394
.LBB4_231:                              ; =>This Loop Header: Depth=1
                                        ;     Child Loop BB4_240 Depth 2
                                        ;     Child Loop BB4_264 Depth 2
	;; [unrolled: 1-line block ×10, first 2 shown]
	v_sub_nc_u64_e32 v[50:51], v[4:5], v[32:33]
	v_mov_b32_e32 v64, 0
	s_delay_alu instid0(VALU_DEP_2) | instskip(NEXT) | instid1(VALU_DEP_1)
	v_min_u64 v[50:51], v[12:13], v[50:51]
	v_add_nc_u32_e32 v28, 15, v50
	s_delay_alu instid0(VALU_DEP_2) | instskip(NEXT) | instid1(VALU_DEP_2)
	v_cmp_eq_u64_e32 vcc_lo, 0, v[50:51]
	v_and_b32_e32 v28, 0xffffff0, v28
	s_or_b32 s18, s1, vcc_lo
	s_delay_alu instid0(SALU_CYCLE_1) | instskip(NEXT) | instid1(VALU_DEP_1)
	s_xor_b32 s7, s18, -1
	v_max_i32_e32 v51, s16, v28
	s_and_saveexec_b32 s19, s7
	s_cbranch_execz .LBB4_348
; %bb.232:                              ;   in Loop: Header=BB4_231 Depth=1
	s_and_saveexec_b32 s7, s0
	s_cbranch_execz .LBB4_234
; %bb.233:                              ;   in Loop: Header=BB4_231 Depth=1
	s_trap 2
	ds_load_b64 v[64:65], v0
	ds_load_2addr_b64 v[52:55], v0 offset1:1
	v_add_nc_u64_e32 v[66:67], v[32:33], v[14:15]
	s_delay_alu instid0(VALU_DEP_1) | instskip(SKIP_1) | instid1(VALU_DEP_1)
	v_lshlrev_b64_e32 v[66:67], 3, v[66:67]
	s_wait_dscnt 0x1
	v_add_nc_u64_e32 v[68:69], v[64:65], v[66:67]
	v_cmp_ne_u64_e32 vcc_lo, 0, v[64:65]
	s_wait_dscnt 0x0
	v_add_nc_u64_e32 v[52:53], v[52:53], v[66:67]
	v_add_nc_u64_e32 v[54:55], v[54:55], v[66:67]
	s_delay_alu instid0(VALU_DEP_4)
	v_dual_cndmask_b32 v65, 0, v69 :: v_dual_cndmask_b32 v64, 0, v68
	ds_store_b64 v0, v[52:53]
	ds_store_b64 v0, v[54:55]
	;; [unrolled: 1-line block ×3, first 2 shown]
.LBB4_234:                              ;   in Loop: Header=BB4_231 Depth=1
	s_or_b32 exec_lo, exec_lo, s7
	v_and_b32_e32 v28, 4, v30
	s_mov_b32 s20, exec_lo
	s_delay_alu instid0(VALU_DEP_1)
	v_cmpx_ne_u32_e32 0, v28
	s_cbranch_execz .LBB4_256
; %bb.235:                              ;   in Loop: Header=BB4_231 Depth=1
	v_add_nc_u64_e32 v[52:53], 1, v[8:9]
	s_mov_b32 s21, exec_lo
	s_wait_loadcnt 0x0
	s_delay_alu instid0(VALU_DEP_1)
	v_cmpx_lt_u64_e64 v[24:25], v[52:53]
	s_cbranch_execz .LBB4_247
; %bb.236:                              ;   in Loop: Header=BB4_231 Depth=1
	v_and_b32_e32 v9, 64, v30
	s_mov_b32 s22, 0
	s_mov_b32 s26, 0
                                        ; implicit-def: $sgpr23
                                        ; implicit-def: $sgpr24
                                        ; implicit-def: $sgpr25
	s_delay_alu instid0(VALU_DEP_1)
	v_cmp_eq_u32_e32 vcc_lo, 0, v9
	s_branch .LBB4_240
.LBB4_237:                              ;   in Loop: Header=BB4_240 Depth=2
	s_wait_loadcnt_dscnt 0x0
	v_cmp_ge_u64_e64 s7, v[24:25], v[52:53]
	s_or_b32 s29, s29, exec_lo
	s_or_not1_b32 s28, s7, exec_lo
.LBB4_238:                              ;   in Loop: Header=BB4_240 Depth=2
	s_or_b32 exec_lo, exec_lo, s41
	s_delay_alu instid0(SALU_CYCLE_1)
	s_and_not1_b32 s7, s25, exec_lo
	s_and_b32 s25, s29, exec_lo
	s_and_not1_b32 s24, s24, exec_lo
	s_and_b32 s28, s28, exec_lo
	s_or_b32 s25, s7, s25
	s_or_b32 s24, s24, s28
.LBB4_239:                              ;   in Loop: Header=BB4_240 Depth=2
	s_or_b32 exec_lo, exec_lo, s27
	s_delay_alu instid0(SALU_CYCLE_1) | instskip(NEXT) | instid1(SALU_CYCLE_1)
	s_and_b32 s7, exec_lo, s24
	s_or_b32 s22, s7, s22
	s_and_not1_b32 s7, s23, exec_lo
	s_and_b32 s23, s25, exec_lo
	s_delay_alu instid0(SALU_CYCLE_1)
	s_or_b32 s23, s7, s23
	s_and_not1_b32 exec_lo, exec_lo, s22
	s_cbranch_execz .LBB4_244
.LBB4_240:                              ;   Parent Loop BB4_231 Depth=1
                                        ; =>  This Inner Loop Header: Depth=2
	s_sleep 1
	s_wait_loadcnt_dscnt 0x0
	flat_load_b64 v[24:25], v[18:19] scope:SCOPE_SYS
	s_or_b32 s25, s25, exec_lo
	s_or_b32 s24, s24, exec_lo
                                        ; implicit-def: $vgpr9
	s_wait_xcnt 0x0
	s_and_saveexec_b32 s27, vcc_lo
	s_cbranch_execz .LBB4_239
; %bb.241:                              ;   in Loop: Header=BB4_240 Depth=2
	s_cmp_lt_i32 s26, 0x270f
	s_mov_b32 s28, -1
	s_cselect_b32 s40, -1, 0
	s_cmp_gt_i32 s26, 0x270e
	s_cbranch_scc0 .LBB4_243
; %bb.242:                              ;   in Loop: Header=BB4_240 Depth=2
	s_trap 2
	ds_load_b64 v[54:55], v0
	s_and_not1_b32 s26, s40, exec_lo
	s_mov_b32 s29, 0
	s_wait_storecnt 0x0
	s_wait_loadcnt_dscnt 0x0
	flat_load_b32 v9, v[54:55] scope:SCOPE_SYS
	s_wait_loadcnt_dscnt 0x0
	global_inv scope:SCOPE_SYS
	v_cmp_eq_u32_e64 s7, 0, v9
	s_and_b32 s7, s7, exec_lo
	s_delay_alu instid0(SALU_CYCLE_1)
	s_or_b32 s40, s26, s7
	s_mov_b32 s26, 0
	s_and_saveexec_b32 s41, s40
	s_cbranch_execz .LBB4_238
	s_branch .LBB4_237
.LBB4_243:                              ;   in Loop: Header=BB4_240 Depth=2
	s_add_co_i32 s26, s26, 1
	s_mov_b32 s29, -1
                                        ; implicit-def: $vgpr9
	s_and_saveexec_b32 s41, s40
	s_cbranch_execz .LBB4_238
	s_branch .LBB4_237
.LBB4_244:                              ;   in Loop: Header=BB4_231 Depth=1
	s_or_b32 exec_lo, exec_lo, s22
	s_xor_b32 s7, s23, -1
	s_delay_alu instid0(SALU_CYCLE_1) | instskip(NEXT) | instid1(SALU_CYCLE_1)
	s_and_saveexec_b32 s22, s7
	s_xor_b32 s7, exec_lo, s22
	s_cbranch_execz .LBB4_246
; %bb.245:                              ;   in Loop: Header=BB4_231 Depth=1
	v_or_b32_e32 v30, 64, v30
	s_wait_storecnt 0x0
	s_wait_loadcnt_dscnt 0x0
	ds_store_b32 v0, v9
	s_trap 2
.LBB4_246:                              ;   in Loop: Header=BB4_231 Depth=1
	s_or_b32 exec_lo, exec_lo, s7
.LBB4_247:                              ;   in Loop: Header=BB4_231 Depth=1
	s_delay_alu instid0(SALU_CYCLE_1) | instskip(SKIP_4) | instid1(VALU_DEP_2)
	s_or_b32 exec_lo, exec_lo, s21
	v_and_b32_e32 v9, 0x100, v30
	v_and_b32_e32 v28, 7, v8
	s_mov_b32 s7, -1
	;;#ASMSTART
	s_wakeup
	;;#ASMEND
	v_cmp_ne_u32_e32 vcc_lo, 0, v9
                                        ; implicit-def: $vgpr8_vgpr9
	s_and_saveexec_b32 s21, vcc_lo
	s_cbranch_execz .LBB4_251
; %bb.248:                              ;   in Loop: Header=BB4_231 Depth=1
	v_mad_nc_u64_u32 v[54:55], v28, 24, v[6:7]
	flat_load_b32 v8, v[54:55]
	s_wait_loadcnt_dscnt 0x0
	v_cmp_eq_u32_e64 s7, 1, v8
	v_cmp_ne_u32_e32 vcc_lo, 1, v8
                                        ; implicit-def: $vgpr8_vgpr9
	s_wait_xcnt 0x0
	s_and_saveexec_b32 s22, s7
	s_cbranch_execz .LBB4_250
; %bb.249:                              ;   in Loop: Header=BB4_231 Depth=1
	flat_load_b32 v8, v[54:55] offset:4 scope:SCOPE_SYS
	s_wait_loadcnt_dscnt 0x0
	v_ashrrev_i32_e32 v9, 31, v8
	s_delay_alu instid0(VALU_DEP_1)
	v_lshrrev_b64 v[8:9], 3, v[8:9]
.LBB4_250:                              ;   in Loop: Header=BB4_231 Depth=1
	s_wait_xcnt 0x0
	s_or_b32 exec_lo, exec_lo, s22
	s_delay_alu instid0(SALU_CYCLE_1)
	s_or_not1_b32 s7, vcc_lo, exec_lo
.LBB4_251:                              ;   in Loop: Header=BB4_231 Depth=1
	s_or_b32 exec_lo, exec_lo, s21
	s_and_saveexec_b32 s21, s7
; %bb.252:                              ;   in Loop: Header=BB4_231 Depth=1
	v_mul_u64_e32 v[8:9], v[28:29], v[20:21]
; %bb.253:                              ;   in Loop: Header=BB4_231 Depth=1
	s_or_b32 exec_lo, exec_lo, s21
	v_and_b32_e32 v28, 0x2000, v30
	s_delay_alu instid0(VALU_DEP_2)
	v_lshl_add_u64 v[8:9], v[8:9], 3, v[22:23]
	s_mov_b32 s7, exec_lo
	ds_store_b64 v0, v[8:9] offset:728
	v_cmpx_ne_u32_e32 0, v28
	s_cbranch_execz .LBB4_255
; %bb.254:                              ;   in Loop: Header=BB4_231 Depth=1
	ds_load_b64 v[8:9], v0 offset:872
	s_wait_dscnt 0x0
	v_add_nc_u64_e32 v[8:9], 1, v[8:9]
	ds_store_b64 v0, v[8:9] offset:872
.LBB4_255:                              ;   in Loop: Header=BB4_231 Depth=1
	s_or_b32 exec_lo, exec_lo, s7
	v_mov_b64_e32 v[8:9], v[52:53]
.LBB4_256:                              ;   in Loop: Header=BB4_231 Depth=1
	s_or_b32 exec_lo, exec_lo, s20
	s_and_saveexec_b32 s7, s2
	s_cbranch_execz .LBB4_275
; %bb.257:                              ;   in Loop: Header=BB4_231 Depth=1
	s_and_saveexec_b32 s20, s3
	s_delay_alu instid0(SALU_CYCLE_1)
	s_xor_b32 s20, exec_lo, s20
	s_cbranch_execz .LBB4_272
; %bb.258:                              ;   in Loop: Header=BB4_231 Depth=1
	s_and_saveexec_b32 s21, s4
	s_cbranch_execz .LBB4_271
; %bb.259:                              ;   in Loop: Header=BB4_231 Depth=1
	s_mov_b32 s23, exec_lo
	s_mov_b32 s22, exec_lo
	v_mbcnt_lo_u32_b32 v28, s23, 0
	global_wb scope:SCOPE_DEV
	s_wait_storecnt 0x0
	s_wait_loadcnt_dscnt 0x0
	global_inv scope:SCOPE_DEV
	v_cmpx_eq_u32_e32 0, v28
	s_cbranch_execz .LBB4_261
; %bb.260:                              ;   in Loop: Header=BB4_231 Depth=1
	s_bcnt1_i32_b32 s23, s23
	s_delay_alu instid0(SALU_CYCLE_1)
	v_mov_b32_e32 v28, s23
	s_wait_loadcnt 0x0
	ds_add_u64 v0, v[28:29]
	s_trap 2
.LBB4_261:                              ;   in Loop: Header=BB4_231 Depth=1
	s_or_b32 exec_lo, exec_lo, s22
	s_trap 2
	ds_load_b64 v[52:53], v0
	s_wait_dscnt 0x0
	v_add_nc_u64_e32 v[10:11], v[10:11], v[26:27]
	s_mov_b32 s22, exec_lo
	s_delay_alu instid0(VALU_DEP_1)
	v_cmpx_lt_u64_e64 v[52:53], v[10:11]
	s_cbranch_execz .LBB4_270
; %bb.262:                              ;   in Loop: Header=BB4_231 Depth=1
	s_mov_b32 s23, 0
	s_mov_b32 s26, 0
                                        ; implicit-def: $sgpr24
                                        ; implicit-def: $sgpr25
	s_branch .LBB4_264
.LBB4_263:                              ;   in Loop: Header=BB4_264 Depth=2
	s_or_b32 exec_lo, exec_lo, s28
	s_delay_alu instid0(SALU_CYCLE_1) | instskip(NEXT) | instid1(SALU_CYCLE_1)
	s_and_b32 s27, exec_lo, s29
	s_or_b32 s23, s27, s23
	s_and_not1_b32 s24, s24, exec_lo
	s_and_b32 s27, s25, exec_lo
	s_delay_alu instid0(SALU_CYCLE_1)
	s_or_b32 s24, s24, s27
	s_and_not1_b32 exec_lo, exec_lo, s23
	s_cbranch_execz .LBB4_268
.LBB4_264:                              ;   Parent Loop BB4_231 Depth=1
                                        ; =>  This Inner Loop Header: Depth=2
	s_add_co_i32 s26, s26, 1
	s_delay_alu instid0(SALU_CYCLE_1) | instskip(SKIP_1) | instid1(SALU_CYCLE_1)
	s_cmp_lg_u32 s26, 0x2710
	s_cselect_b32 s27, -1, 0
	s_and_b32 vcc_lo, exec_lo, s27
	s_cbranch_vccz .LBB4_266
; %bb.265:                              ;   in Loop: Header=BB4_264 Depth=2
	s_mov_b32 s29, -1
	s_or_b32 s25, s25, exec_lo
	s_and_saveexec_b32 s28, s27
	s_cbranch_execz .LBB4_263
	s_branch .LBB4_267
.LBB4_266:                              ;   in Loop: Header=BB4_264 Depth=2
	s_trap 2
	ds_load_b64 v[52:53], v0
	s_and_not1_b32 s27, s27, exec_lo
	s_mov_b32 s26, 0
	s_wait_loadcnt_dscnt 0x0
	flat_load_b32 v28, v[52:53] scope:SCOPE_SYS
	s_wait_loadcnt_dscnt 0x0
	global_inv scope:SCOPE_SYS
	v_cmp_eq_u32_e32 vcc_lo, 0, v28
	s_and_b32 s28, vcc_lo, exec_lo
	s_delay_alu instid0(SALU_CYCLE_1)
	s_or_b32 s27, s27, s28
	s_mov_b32 s29, -1
	s_or_b32 s25, s25, exec_lo
	s_and_saveexec_b32 s28, s27
	s_cbranch_execz .LBB4_263
.LBB4_267:                              ;   in Loop: Header=BB4_264 Depth=2
	s_sleep 1
	s_trap 2
	ds_load_b64 v[52:53], v0
	s_wait_dscnt 0x0
	s_and_not1_b32 s25, s25, exec_lo
	v_cmp_ge_u64_e32 vcc_lo, v[52:53], v[10:11]
	s_or_not1_b32 s29, vcc_lo, exec_lo
	s_branch .LBB4_263
.LBB4_268:                              ;   in Loop: Header=BB4_231 Depth=1
	s_or_b32 exec_lo, exec_lo, s23
	s_and_saveexec_b32 s23, s24
	s_delay_alu instid0(SALU_CYCLE_1)
	s_xor_b32 s23, exec_lo, s23
	s_cbranch_execz .LBB4_270
; %bb.269:                              ;   in Loop: Header=BB4_231 Depth=1
	ds_store_b32 v0, v80
	s_trap 2
.LBB4_270:                              ;   in Loop: Header=BB4_231 Depth=1
	s_or_b32 exec_lo, exec_lo, s22
	;;#ASMSTART
	s_wakeup
	;;#ASMEND
.LBB4_271:                              ;   in Loop: Header=BB4_231 Depth=1
	s_or_b32 exec_lo, exec_lo, s21
.LBB4_272:                              ;   in Loop: Header=BB4_231 Depth=1
	s_and_not1_saveexec_b32 s20, s20
	s_cbranch_execz .LBB4_274
; %bb.273:                              ;   in Loop: Header=BB4_231 Depth=1
	global_wb scope:SCOPE_DEV
	s_wait_storecnt 0x0
	s_wait_loadcnt_dscnt 0x0
	global_inv scope:SCOPE_DEV
	s_barrier_signal -1
	s_barrier_wait -1
.LBB4_274:                              ;   in Loop: Header=BB4_231 Depth=1
	s_or_b32 exec_lo, exec_lo, s20
.LBB4_275:                              ;   in Loop: Header=BB4_231 Depth=1
	s_delay_alu instid0(SALU_CYCLE_1) | instskip(SKIP_3) | instid1(VALU_DEP_1)
	s_or_b32 exec_lo, exec_lo, s7
	s_trap 2
	ds_load_b32 v64, v0
	v_and_b32_e32 v28, 0x4000, v30
	v_cmp_ne_u32_e32 vcc_lo, 0, v28
	s_and_b32 s20, s17, vcc_lo
	s_delay_alu instid0(SALU_CYCLE_1)
	s_and_saveexec_b32 s7, s20
	s_cbranch_execz .LBB4_294
; %bb.276:                              ;   in Loop: Header=BB4_231 Depth=1
	s_and_saveexec_b32 s20, s3
	s_delay_alu instid0(SALU_CYCLE_1)
	s_xor_b32 s20, exec_lo, s20
	s_cbranch_execz .LBB4_291
; %bb.277:                              ;   in Loop: Header=BB4_231 Depth=1
	s_and_saveexec_b32 s21, s4
	s_cbranch_execz .LBB4_290
; %bb.278:                              ;   in Loop: Header=BB4_231 Depth=1
	s_mov_b32 s23, exec_lo
	s_mov_b32 s22, exec_lo
	v_mbcnt_lo_u32_b32 v28, s23, 0
	global_wb scope:SCOPE_DEV
	s_wait_storecnt 0x0
	s_wait_loadcnt_dscnt 0x0
	global_inv scope:SCOPE_DEV
	v_cmpx_eq_u32_e32 0, v28
	s_cbranch_execz .LBB4_280
; %bb.279:                              ;   in Loop: Header=BB4_231 Depth=1
	s_bcnt1_i32_b32 s23, s23
	s_delay_alu instid0(SALU_CYCLE_1)
	v_mov_b32_e32 v28, s23
	s_wait_loadcnt 0x0
	ds_add_u64 v0, v[28:29]
	s_trap 2
.LBB4_280:                              ;   in Loop: Header=BB4_231 Depth=1
	s_or_b32 exec_lo, exec_lo, s22
	s_trap 2
	ds_load_b64 v[52:53], v0
	s_wait_dscnt 0x0
	v_add_nc_u64_e32 v[10:11], v[10:11], v[26:27]
	s_mov_b32 s22, exec_lo
	s_delay_alu instid0(VALU_DEP_1)
	v_cmpx_lt_u64_e64 v[52:53], v[10:11]
	s_cbranch_execz .LBB4_289
; %bb.281:                              ;   in Loop: Header=BB4_231 Depth=1
	s_mov_b32 s23, 0
	s_mov_b32 s26, 0
                                        ; implicit-def: $sgpr24
                                        ; implicit-def: $sgpr25
	s_branch .LBB4_283
.LBB4_282:                              ;   in Loop: Header=BB4_283 Depth=2
	s_or_b32 exec_lo, exec_lo, s28
	s_delay_alu instid0(SALU_CYCLE_1) | instskip(NEXT) | instid1(SALU_CYCLE_1)
	s_and_b32 s27, exec_lo, s29
	s_or_b32 s23, s27, s23
	s_and_not1_b32 s24, s24, exec_lo
	s_and_b32 s27, s25, exec_lo
	s_delay_alu instid0(SALU_CYCLE_1)
	s_or_b32 s24, s24, s27
	s_and_not1_b32 exec_lo, exec_lo, s23
	s_cbranch_execz .LBB4_287
.LBB4_283:                              ;   Parent Loop BB4_231 Depth=1
                                        ; =>  This Inner Loop Header: Depth=2
	s_add_co_i32 s26, s26, 1
	s_delay_alu instid0(SALU_CYCLE_1) | instskip(SKIP_1) | instid1(SALU_CYCLE_1)
	s_cmp_lg_u32 s26, 0x2710
	s_cselect_b32 s27, -1, 0
	s_and_b32 vcc_lo, exec_lo, s27
	s_cbranch_vccz .LBB4_285
; %bb.284:                              ;   in Loop: Header=BB4_283 Depth=2
	s_mov_b32 s29, -1
	s_or_b32 s25, s25, exec_lo
	s_and_saveexec_b32 s28, s27
	s_cbranch_execz .LBB4_282
	s_branch .LBB4_286
.LBB4_285:                              ;   in Loop: Header=BB4_283 Depth=2
	s_trap 2
	ds_load_b64 v[52:53], v0
	s_and_not1_b32 s27, s27, exec_lo
	s_mov_b32 s26, 0
	s_wait_loadcnt_dscnt 0x0
	flat_load_b32 v28, v[52:53] scope:SCOPE_SYS
	s_wait_loadcnt_dscnt 0x0
	global_inv scope:SCOPE_SYS
	v_cmp_eq_u32_e32 vcc_lo, 0, v28
	s_and_b32 s28, vcc_lo, exec_lo
	s_delay_alu instid0(SALU_CYCLE_1)
	s_or_b32 s27, s27, s28
	s_mov_b32 s29, -1
	s_or_b32 s25, s25, exec_lo
	s_and_saveexec_b32 s28, s27
	s_cbranch_execz .LBB4_282
.LBB4_286:                              ;   in Loop: Header=BB4_283 Depth=2
	s_sleep 1
	s_trap 2
	ds_load_b64 v[52:53], v0
	s_wait_dscnt 0x0
	s_and_not1_b32 s25, s25, exec_lo
	v_cmp_ge_u64_e32 vcc_lo, v[52:53], v[10:11]
	s_or_not1_b32 s29, vcc_lo, exec_lo
	s_branch .LBB4_282
.LBB4_287:                              ;   in Loop: Header=BB4_231 Depth=1
	s_or_b32 exec_lo, exec_lo, s23
	s_and_saveexec_b32 s23, s24
	s_delay_alu instid0(SALU_CYCLE_1)
	s_xor_b32 s23, exec_lo, s23
	s_cbranch_execz .LBB4_289
; %bb.288:                              ;   in Loop: Header=BB4_231 Depth=1
	ds_store_b32 v0, v80
	s_trap 2
.LBB4_289:                              ;   in Loop: Header=BB4_231 Depth=1
	s_or_b32 exec_lo, exec_lo, s22
	;;#ASMSTART
	s_wakeup
	;;#ASMEND
.LBB4_290:                              ;   in Loop: Header=BB4_231 Depth=1
	s_or_b32 exec_lo, exec_lo, s21
.LBB4_291:                              ;   in Loop: Header=BB4_231 Depth=1
	s_and_not1_saveexec_b32 s20, s20
	s_cbranch_execz .LBB4_293
; %bb.292:                              ;   in Loop: Header=BB4_231 Depth=1
	global_wb scope:SCOPE_DEV
	s_wait_storecnt 0x0
	s_wait_loadcnt_dscnt 0x0
	global_inv scope:SCOPE_DEV
	s_barrier_signal -1
	s_barrier_wait -1
.LBB4_293:                              ;   in Loop: Header=BB4_231 Depth=1
	s_or_b32 exec_lo, exec_lo, s20
.LBB4_294:                              ;   in Loop: Header=BB4_231 Depth=1
	s_delay_alu instid0(SALU_CYCLE_1)
	s_or_b32 exec_lo, exec_lo, s7
	s_trap 2
	ds_load_b64 v[52:53], v0
	v_min_u32_e32 v51, v51, v50
	s_wait_dscnt 0x0
	v_cmp_eq_u64_e32 vcc_lo, 0, v[52:53]
	s_cbranch_vccnz .LBB4_302
; %bb.295:                              ;   in Loop: Header=BB4_231 Depth=1
	s_trap 2
	ds_load_b64 v[54:55], v0
	s_wait_dscnt 0x0
	v_cmp_eq_u64_e32 vcc_lo, 0, v[54:55]
	s_cbranch_vccnz .LBB4_302
; %bb.296:                              ;   in Loop: Header=BB4_231 Depth=1
	s_mov_b32 s7, -1
	s_and_saveexec_b32 s20, s5
	s_cbranch_execz .LBB4_298
; %bb.297:                              ;   in Loop: Header=BB4_231 Depth=1
	ds_load_b32 v28, v0 offset:720
	s_wait_dscnt 0x0
	v_and_b32_e32 v28, 15, v28
	s_delay_alu instid0(VALU_DEP_1)
	v_cmp_eq_u32_e32 vcc_lo, 0, v28
	s_or_not1_b32 s7, vcc_lo, exec_lo
.LBB4_298:                              ;   in Loop: Header=BB4_231 Depth=1
	s_or_b32 exec_lo, exec_lo, s20
	s_and_saveexec_b32 s20, s6
	s_cbranch_execz .LBB4_300
; %bb.299:                              ;   in Loop: Header=BB4_231 Depth=1
	ds_load_b32 v28, v0 offset:784
	s_wait_dscnt 0x0
	v_and_b32_e32 v28, 15, v28
	s_delay_alu instid0(VALU_DEP_1) | instskip(SKIP_3) | instid1(SALU_CYCLE_1)
	v_cmp_eq_u32_e32 vcc_lo, 0, v28
	s_and_b32 s21, s7, vcc_lo
	s_and_not1_b32 s7, s7, exec_lo
	s_and_b32 s21, s21, exec_lo
	s_or_b32 s7, s7, s21
.LBB4_300:                              ;   in Loop: Header=BB4_231 Depth=1
	s_or_b32 exec_lo, exec_lo, s20
	v_cmp_eq_u32_e32 vcc_lo, 0, v64
	s_xor_b32 s7, s7, -1
	s_mov_b32 s21, -1
	v_cndmask_b32_e64 v65, 0, 1, s7
	v_dual_mov_b32 v83, 0 :: v_dual_cndmask_b32 v28, 0, v51
	s_delay_alu instid0(VALU_DEP_2) | instskip(NEXT) | instid1(VALU_DEP_2)
	v_cmp_ne_u32_e32 vcc_lo, 0, v65
	v_lshlrev_b32_e32 v81, 3, v28
	s_cbranch_vccz .LBB4_303
; %bb.301:                              ;   in Loop: Header=BB4_231 Depth=1
	v_dual_mov_b32 v84, v0 :: v_dual_mov_b32 v64, v70
	s_and_saveexec_b32 s7, s21
	s_cbranch_execnz .LBB4_316
	s_branch .LBB4_324
.LBB4_302:                              ;   in Loop: Header=BB4_231 Depth=1
	s_mov_b32 s7, 0
	s_and_saveexec_b32 s20, s2
	s_cbranch_execnz .LBB4_325
	s_branch .LBB4_343
.LBB4_303:                              ;   in Loop: Header=BB4_231 Depth=1
	v_lshrrev_b32_e32 v83, 7, v28
	s_mov_b32 s7, exec_lo
	s_delay_alu instid0(VALU_DEP_1) | instskip(NEXT) | instid1(VALU_DEP_1)
	v_sub_nc_u32_e32 v86, v83, v70
	v_cmpx_lt_i32_e32 0, v86
	s_cbranch_execz .LBB4_307
; %bb.304:                              ;   in Loop: Header=BB4_231 Depth=1
	s_trap 2
	ds_load_b64 v[66:67], v0
	v_add_nc_u64_e32 v[64:65], v[52:53], v[38:39]
	v_add_nc_u64_e32 v[68:69], v[54:55], v[38:39]
	s_mov_b32 s20, 0
	s_wait_dscnt 0x0
	v_add_nc_u64_e32 v[66:67], v[66:67], v[38:39]
.LBB4_305:                              ;   Parent Loop BB4_231 Depth=1
                                        ; =>  This Inner Loop Header: Depth=2
	global_load_b128 v[96:99], v[66:67], off th:TH_LOAD_NT
	s_clause 0x1
	global_load_b128 v[100:103], v[64:65], off th:TH_LOAD_NT
	global_load_b128 v[112:115], v[64:65], off offset:512 th:TH_LOAD_NT
	global_load_b128 v[116:119], v[66:67], off offset:512 th:TH_LOAD_NT
	v_sub_nc_u32_e32 v86, v86, v26
	s_wait_xcnt 0x1
	v_add_nc_u64_e32 v[64:65], v[64:65], v[34:35]
	s_wait_xcnt 0x0
	v_add_nc_u64_e32 v[66:67], v[66:67], v[34:35]
	v_cmp_gt_i32_e32 vcc_lo, 1, v86
	s_or_b32 s20, vcc_lo, s20
	s_wait_loadcnt 0x2
	v_mul_u64_e32 v[96:97], v[96:97], v[100:101]
	v_mul_u64_e32 v[98:99], v[98:99], v[102:103]
	s_wait_loadcnt 0x0
	v_mul_u64_e32 v[100:101], v[116:117], v[112:113]
	v_mul_u64_e32 v[102:103], v[118:119], v[114:115]
	s_clause 0x1
	global_store_b128 v[68:69], v[96:99], off th:TH_STORE_NT
	global_store_b128 v[68:69], v[100:103], off offset:512 th:TH_STORE_NT
	s_wait_xcnt 0x0
	v_add_nc_u64_e32 v[68:69], v[68:69], v[34:35]
	s_and_not1_b32 exec_lo, exec_lo, s20
	s_cbranch_execnz .LBB4_305
; %bb.306:                              ;   in Loop: Header=BB4_231 Depth=1
	s_or_b32 exec_lo, exec_lo, s20
.LBB4_307:                              ;   in Loop: Header=BB4_231 Depth=1
	s_delay_alu instid0(SALU_CYCLE_1) | instskip(SKIP_3) | instid1(VALU_DEP_1)
	s_or_b32 exec_lo, exec_lo, s7
	v_dual_lshlrev_b32 v85, 10, v83 :: v_dual_mov_b32 v83, 0
	s_mov_b32 s21, 0
	s_mov_b32 s20, exec_lo
                                        ; implicit-def: $vgpr84
                                        ; implicit-def: $vgpr64
	v_cmpx_ne_u32_e64 v81, v85
	s_cbranch_execz .LBB4_315
; %bb.308:                              ;   in Loop: Header=BB4_231 Depth=1
	v_dual_lshlrev_b32 v64, 5, v86 :: v_dual_sub_nc_u32 v66, v81, v85
	s_mov_b32 s21, exec_lo
	s_delay_alu instid0(VALU_DEP_1) | instskip(NEXT) | instid1(VALU_DEP_1)
	v_dual_sub_nc_u32 v64, v71, v64 :: v_dual_ashrrev_i32 v67, 31, v66
	v_dual_ashrrev_i32 v65, 31, v64 :: v_dual_lshrrev_b32 v67, 23, v67
	s_delay_alu instid0(VALU_DEP_1) | instskip(NEXT) | instid1(VALU_DEP_1)
	v_lshrrev_b32_e32 v65, 27, v65
	v_add_nc_u32_e32 v65, v64, v65
	s_delay_alu instid0(VALU_DEP_1) | instskip(NEXT) | instid1(VALU_DEP_1)
	v_and_b32_e32 v68, 0xffffffe0, v65
	v_dual_add_nc_u32 v67, v66, v67 :: v_dual_sub_nc_u32 v87, v64, v68
	s_delay_alu instid0(VALU_DEP_1) | instskip(SKIP_1) | instid1(VALU_DEP_2)
	v_and_b32_e32 v86, 0xfffffe00, v67
	v_dual_ashrrev_i32 v65, 5, v65 :: v_dual_ashrrev_i32 v67, 9, v67
	v_dual_lshlrev_b32 v64, 4, v87 :: v_dual_sub_nc_u32 v96, v66, v86
	s_delay_alu instid0(VALU_DEP_1) | instskip(NEXT) | instid1(VALU_DEP_2)
	v_lshl_add_u32 v64, v65, 9, v64
	v_cmp_lt_i32_e32 vcc_lo, 15, v96
	s_delay_alu instid0(VALU_DEP_4) | instskip(NEXT) | instid1(VALU_DEP_1)
	v_add_co_ci_u32_e64 v67, null, 0, v67, vcc_lo
	v_dual_sub_nc_u32 v83, v66, v64 :: v_dual_sub_nc_u32 v97, v67, v65
	s_delay_alu instid0(VALU_DEP_1)
	v_cmpx_lt_i32_e32 15, v83
	s_cbranch_execz .LBB4_312
; %bb.309:                              ;   in Loop: Header=BB4_231 Depth=1
	s_trap 2
	ds_load_b64 v[66:67], v0
	v_add_nc_u32_e32 v68, v64, v85
	s_mov_b32 s22, 0
	s_delay_alu instid0(VALU_DEP_1) | instskip(NEXT) | instid1(VALU_DEP_1)
	v_ashrrev_i32_e32 v69, 31, v68
	v_add_nc_u64_e32 v[64:65], v[68:69], v[52:53]
	s_wait_dscnt 0x0
	v_add_nc_u64_e32 v[66:67], v[66:67], v[68:69]
	v_add_nc_u64_e32 v[68:69], v[68:69], v[54:55]
.LBB4_310:                              ;   Parent Loop BB4_231 Depth=1
                                        ; =>  This Inner Loop Header: Depth=2
	global_load_b128 v[98:101], v[64:65], off th:TH_LOAD_NT
	global_load_b128 v[112:115], v[66:67], off th:TH_LOAD_NT
	v_dual_sub_nc_u32 v83, v83, v36 :: v_dual_sub_nc_u32 v97, v97, v26
	s_wait_xcnt 0x1
	v_add_nc_u64_e32 v[64:65], v[64:65], v[36:37]
	s_wait_xcnt 0x0
	v_add_nc_u64_e32 v[66:67], v[66:67], v[36:37]
	v_cmp_gt_i32_e64 s7, 16, v83
	s_or_b32 s22, s7, s22
	s_wait_loadcnt 0x0
	v_mul_u64_e32 v[98:99], v[112:113], v[98:99]
	v_mul_u64_e32 v[100:101], v[114:115], v[100:101]
	global_store_b128 v[68:69], v[98:101], off th:TH_STORE_NT
	s_wait_xcnt 0x0
	v_add_nc_u64_e32 v[68:69], v[68:69], v[36:37]
	s_and_not1_b32 exec_lo, exec_lo, s22
	s_cbranch_execnz .LBB4_310
; %bb.311:                              ;   in Loop: Header=BB4_231 Depth=1
	s_or_b32 exec_lo, exec_lo, s22
.LBB4_312:                              ;   in Loop: Header=BB4_231 Depth=1
	s_delay_alu instid0(SALU_CYCLE_1) | instskip(SKIP_3) | instid1(VALU_DEP_1)
	s_or_b32 exec_lo, exec_lo, s21
	v_dual_mov_b32 v83, 0 :: v_dual_bitop2_b32 v65, 8, v81 bitop3:0x40
	s_mov_b32 s21, 0
	s_mov_b32 s22, exec_lo
                                        ; implicit-def: $vgpr84
                                        ; implicit-def: $vgpr64
	v_cndmask_b32_e32 v81, v96, v65, vcc_lo
	s_delay_alu instid0(VALU_DEP_1)
	v_cmpx_ne_u32_e32 0, v81
	s_cbranch_execz .LBB4_314
; %bb.313:                              ;   in Loop: Header=BB4_231 Depth=1
	v_cmp_lt_i32_e64 s7, 0, v97
	s_mov_b32 s21, exec_lo
	v_dual_sub_nc_u32 v65, v96, v65 :: v_dual_cndmask_b32 v64, 0, v26, s7
	s_delay_alu instid0(VALU_DEP_1) | instskip(NEXT) | instid1(VALU_DEP_2)
	v_cndmask_b32_e32 v65, 0, v65, vcc_lo
	v_sub_nc_u32_e32 v64, v64, v97
	s_delay_alu instid0(VALU_DEP_2) | instskip(NEXT) | instid1(VALU_DEP_2)
	v_add3_u32 v83, v86, v85, v65
	v_lshl_add_u32 v84, v64, 5, v87
	s_delay_alu instid0(VALU_DEP_1) | instskip(NEXT) | instid1(VALU_DEP_1)
	v_ashrrev_i32_e32 v64, 31, v84
	v_lshrrev_b32_e32 v64, 27, v64
	s_delay_alu instid0(VALU_DEP_1) | instskip(NEXT) | instid1(VALU_DEP_1)
	v_add_nc_u32_e32 v64, v84, v64
	v_ashrrev_i32_e32 v64, 5, v64
.LBB4_314:                              ;   in Loop: Header=BB4_231 Depth=1
	s_or_b32 exec_lo, exec_lo, s22
	s_delay_alu instid0(SALU_CYCLE_1)
	s_and_b32 s21, s21, exec_lo
.LBB4_315:                              ;   in Loop: Header=BB4_231 Depth=1
	s_or_b32 exec_lo, exec_lo, s20
	s_and_saveexec_b32 s7, s21
	s_cbranch_execz .LBB4_324
.LBB4_316:                              ;   in Loop: Header=BB4_231 Depth=1
	v_ashrrev_i32_e32 v65, 31, v81
	s_mov_b32 s20, exec_lo
	s_delay_alu instid0(VALU_DEP_1) | instskip(NEXT) | instid1(VALU_DEP_1)
	v_lshrrev_b32_e32 v65, 23, v65
	v_add_nc_u32_e32 v65, v81, v65
	s_delay_alu instid0(VALU_DEP_1) | instskip(NEXT) | instid1(VALU_DEP_1)
	v_dual_ashrrev_i32 v87, 9, v65 :: v_dual_ashrrev_i32 v65, 31, v84
	v_dual_sub_nc_u32 v85, v87, v64 :: v_dual_lshrrev_b32 v86, 27, v65
	s_delay_alu instid0(VALU_DEP_1)
	v_cmpx_lt_i32_e32 0, v85
	s_cbranch_execz .LBB4_320
; %bb.317:                              ;   in Loop: Header=BB4_231 Depth=1
	s_delay_alu instid0(VALU_DEP_2) | instskip(SKIP_4) | instid1(VALU_DEP_1)
	v_dual_add_nc_u32 v65, v84, v86 :: v_dual_lshlrev_b32 v64, 9, v64
	s_trap 2
	ds_load_b64 v[66:67], v0
	s_mov_b32 s21, 0
	v_and_b32_e32 v65, 0x1fffffe0, v65
	v_sub_nc_u32_e32 v65, v84, v65
	s_delay_alu instid0(VALU_DEP_1) | instskip(NEXT) | instid1(VALU_DEP_1)
	v_lshlrev_b32_e32 v65, 3, v65
	v_add3_u32 v68, v65, v83, v64
	s_delay_alu instid0(VALU_DEP_1) | instskip(NEXT) | instid1(VALU_DEP_1)
	v_ashrrev_i32_e32 v69, 31, v68
	v_add_nc_u64_e32 v[64:65], v[68:69], v[52:53]
	s_wait_dscnt 0x0
	v_add_nc_u64_e32 v[66:67], v[66:67], v[68:69]
	v_add_nc_u64_e32 v[68:69], v[68:69], v[54:55]
.LBB4_318:                              ;   Parent Loop BB4_231 Depth=1
                                        ; =>  This Inner Loop Header: Depth=2
	s_clause 0x1
	flat_load_b64 v[96:97], v[64:65] th:TH_LOAD_NT
	flat_load_b64 v[98:99], v[64:65] offset:256 th:TH_LOAD_NT
	s_clause 0x1
	flat_load_b64 v[100:101], v[66:67] th:TH_LOAD_NT
	flat_load_b64 v[102:103], v[66:67] offset:256 th:TH_LOAD_NT
	v_sub_nc_u32_e32 v85, v85, v26
	s_wait_xcnt 0x2
	v_add_nc_u64_e32 v[64:65], v[64:65], v[36:37]
	s_wait_xcnt 0x0
	v_add_nc_u64_e32 v[66:67], v[66:67], v[36:37]
	v_cmp_gt_i32_e32 vcc_lo, 1, v85
	s_or_b32 s21, vcc_lo, s21
	s_wait_loadcnt_dscnt 0x101
	v_mul_u64_e32 v[96:97], v[100:101], v[96:97]
	s_wait_loadcnt_dscnt 0x0
	v_mul_u64_e32 v[98:99], v[102:103], v[98:99]
	s_clause 0x1
	flat_store_b64 v[68:69], v[96:97] th:TH_STORE_NT
	flat_store_b64 v[68:69], v[98:99] offset:256 th:TH_STORE_NT
	s_wait_xcnt 0x0
	v_add_nc_u64_e32 v[68:69], v[68:69], v[36:37]
	s_and_not1_b32 exec_lo, exec_lo, s21
	s_cbranch_execnz .LBB4_318
; %bb.319:                              ;   in Loop: Header=BB4_231 Depth=1
	s_or_b32 exec_lo, exec_lo, s21
.LBB4_320:                              ;   in Loop: Header=BB4_231 Depth=1
	s_delay_alu instid0(SALU_CYCLE_1) | instskip(SKIP_1) | instid1(VALU_DEP_1)
	s_or_b32 exec_lo, exec_lo, s20
	v_lshlrev_b32_e32 v64, 9, v87
	v_cmp_ne_u32_e32 vcc_lo, v81, v64
	s_and_b32 exec_lo, exec_lo, vcc_lo
	s_cbranch_execz .LBB4_324
; %bb.321:                              ;   in Loop: Header=BB4_231 Depth=1
	v_dual_add_nc_u32 v65, v84, v86 :: v_dual_lshlrev_b32 v66, 5, v85
	s_delay_alu instid0(VALU_DEP_1) | instskip(NEXT) | instid1(VALU_DEP_1)
	v_and_b32_e32 v65, 0xffffffe0, v65
	v_sub_nc_u32_e32 v65, v84, v65
	s_delay_alu instid0(VALU_DEP_1) | instskip(NEXT) | instid1(VALU_DEP_1)
	v_sub_nc_u32_e32 v65, v65, v66
	v_ashrrev_i32_e32 v66, 31, v65
	s_delay_alu instid0(VALU_DEP_1) | instskip(NEXT) | instid1(VALU_DEP_1)
	v_lshrrev_b32_e32 v66, 27, v66
	v_add_nc_u32_e32 v66, v65, v66
	s_delay_alu instid0(VALU_DEP_1) | instskip(NEXT) | instid1(VALU_DEP_1)
	v_and_b32_e32 v67, 0x1fffffe0, v66
	v_dual_lshlrev_b32 v66, 3, v66 :: v_dual_sub_nc_u32 v65, v65, v67
	s_delay_alu instid0(VALU_DEP_1) | instskip(NEXT) | instid1(VALU_DEP_2)
	v_and_b32_e32 v66, 0xffffff00, v66
	v_lshlrev_b32_e32 v65, 3, v65
	s_delay_alu instid0(VALU_DEP_1) | instskip(NEXT) | instid1(VALU_DEP_1)
	v_add3_u32 v64, v66, v65, v64
	v_sub_nc_u32_e32 v66, v81, v64
	s_delay_alu instid0(VALU_DEP_1)
	v_cmp_lt_i32_e32 vcc_lo, 7, v66
	s_and_b32 exec_lo, exec_lo, vcc_lo
	s_cbranch_execz .LBB4_324
; %bb.322:                              ;   in Loop: Header=BB4_231 Depth=1
	s_trap 2
	ds_load_b64 v[68:69], v0
	v_add_nc_u32_e32 v84, v64, v83
	s_mov_b32 s20, 0
	s_delay_alu instid0(VALU_DEP_1) | instskip(NEXT) | instid1(VALU_DEP_1)
	v_ashrrev_i32_e32 v85, 31, v84
	v_add_nc_u64_e32 v[52:53], v[84:85], v[52:53]
	v_add_nc_u64_e32 v[54:55], v[84:85], v[54:55]
	s_wait_dscnt 0x0
	v_add_nc_u64_e32 v[64:65], v[68:69], v[84:85]
.LBB4_323:                              ;   Parent Loop BB4_231 Depth=1
                                        ; =>  This Inner Loop Header: Depth=2
	flat_load_b64 v[68:69], v[52:53] th:TH_LOAD_NT
	flat_load_b64 v[84:85], v[64:65] th:TH_LOAD_NT
	v_sub_nc_u32_e32 v66, v66, v48
	s_wait_xcnt 0x1
	v_add_nc_u64_e32 v[52:53], v[52:53], v[48:49]
	s_wait_xcnt 0x0
	v_add_nc_u64_e32 v[64:65], v[64:65], v[48:49]
	v_cmp_gt_i32_e32 vcc_lo, 8, v66
	s_or_b32 s20, vcc_lo, s20
	s_wait_loadcnt_dscnt 0x0
	v_mul_u64_e32 v[68:69], v[84:85], v[68:69]
	flat_store_b64 v[54:55], v[68:69] th:TH_STORE_NT
	s_wait_xcnt 0x0
	v_add_nc_u64_e32 v[54:55], v[54:55], v[48:49]
	s_and_not1_b32 exec_lo, exec_lo, s20
	s_cbranch_execnz .LBB4_323
.LBB4_324:                              ;   in Loop: Header=BB4_231 Depth=1
	s_or_b32 exec_lo, exec_lo, s7
	v_cmp_ne_u32_e64 s7, 0, v28
	s_and_saveexec_b32 s20, s2
	s_cbranch_execz .LBB4_343
.LBB4_325:                              ;   in Loop: Header=BB4_231 Depth=1
	s_and_saveexec_b32 s21, s3
	s_delay_alu instid0(SALU_CYCLE_1)
	s_xor_b32 s21, exec_lo, s21
	s_cbranch_execz .LBB4_340
; %bb.326:                              ;   in Loop: Header=BB4_231 Depth=1
	s_and_saveexec_b32 s22, s4
	s_cbranch_execz .LBB4_339
; %bb.327:                              ;   in Loop: Header=BB4_231 Depth=1
	s_mov_b32 s24, exec_lo
	s_mov_b32 s23, exec_lo
	v_mbcnt_lo_u32_b32 v28, s24, 0
	global_wb scope:SCOPE_DEV
	s_wait_storecnt 0x0
	s_wait_loadcnt_dscnt 0x0
	global_inv scope:SCOPE_DEV
	v_cmpx_eq_u32_e32 0, v28
	s_cbranch_execz .LBB4_329
; %bb.328:                              ;   in Loop: Header=BB4_231 Depth=1
	s_bcnt1_i32_b32 s24, s24
	s_delay_alu instid0(SALU_CYCLE_1)
	v_mov_b32_e32 v28, s24
	s_wait_loadcnt 0x0
	ds_add_u64 v0, v[28:29]
	s_trap 2
.LBB4_329:                              ;   in Loop: Header=BB4_231 Depth=1
	s_or_b32 exec_lo, exec_lo, s23
	s_trap 2
	ds_load_b64 v[52:53], v0
	s_wait_dscnt 0x0
	v_add_nc_u64_e32 v[10:11], v[10:11], v[26:27]
	s_mov_b32 s23, exec_lo
	s_delay_alu instid0(VALU_DEP_1)
	v_cmpx_lt_u64_e64 v[52:53], v[10:11]
	s_cbranch_execz .LBB4_338
; %bb.330:                              ;   in Loop: Header=BB4_231 Depth=1
	s_mov_b32 s24, 0
	s_mov_b32 s27, 0
                                        ; implicit-def: $sgpr25
                                        ; implicit-def: $sgpr26
	s_branch .LBB4_332
.LBB4_331:                              ;   in Loop: Header=BB4_332 Depth=2
	s_or_b32 exec_lo, exec_lo, s29
	s_delay_alu instid0(SALU_CYCLE_1) | instskip(NEXT) | instid1(SALU_CYCLE_1)
	s_and_b32 s28, exec_lo, s40
	s_or_b32 s24, s28, s24
	s_and_not1_b32 s25, s25, exec_lo
	s_and_b32 s28, s26, exec_lo
	s_delay_alu instid0(SALU_CYCLE_1)
	s_or_b32 s25, s25, s28
	s_and_not1_b32 exec_lo, exec_lo, s24
	s_cbranch_execz .LBB4_336
.LBB4_332:                              ;   Parent Loop BB4_231 Depth=1
                                        ; =>  This Inner Loop Header: Depth=2
	s_add_co_i32 s27, s27, 1
	s_delay_alu instid0(SALU_CYCLE_1) | instskip(SKIP_1) | instid1(SALU_CYCLE_1)
	s_cmp_lg_u32 s27, 0x2710
	s_cselect_b32 s28, -1, 0
	s_and_b32 vcc_lo, exec_lo, s28
	s_cbranch_vccz .LBB4_334
; %bb.333:                              ;   in Loop: Header=BB4_332 Depth=2
	s_mov_b32 s40, -1
	s_or_b32 s26, s26, exec_lo
	s_and_saveexec_b32 s29, s28
	s_cbranch_execz .LBB4_331
	s_branch .LBB4_335
.LBB4_334:                              ;   in Loop: Header=BB4_332 Depth=2
	s_trap 2
	ds_load_b64 v[52:53], v0
	s_and_not1_b32 s28, s28, exec_lo
	s_mov_b32 s27, 0
	s_wait_loadcnt_dscnt 0x0
	flat_load_b32 v28, v[52:53] scope:SCOPE_SYS
	s_wait_loadcnt_dscnt 0x0
	global_inv scope:SCOPE_SYS
	v_cmp_eq_u32_e32 vcc_lo, 0, v28
	s_and_b32 s29, vcc_lo, exec_lo
	s_delay_alu instid0(SALU_CYCLE_1)
	s_or_b32 s28, s28, s29
	s_mov_b32 s40, -1
	s_or_b32 s26, s26, exec_lo
	s_and_saveexec_b32 s29, s28
	s_cbranch_execz .LBB4_331
.LBB4_335:                              ;   in Loop: Header=BB4_332 Depth=2
	s_sleep 1
	s_trap 2
	ds_load_b64 v[52:53], v0
	s_wait_dscnt 0x0
	s_and_not1_b32 s26, s26, exec_lo
	v_cmp_ge_u64_e32 vcc_lo, v[52:53], v[10:11]
	s_or_not1_b32 s40, vcc_lo, exec_lo
	s_branch .LBB4_331
.LBB4_336:                              ;   in Loop: Header=BB4_231 Depth=1
	s_or_b32 exec_lo, exec_lo, s24
	s_and_saveexec_b32 s24, s25
	s_delay_alu instid0(SALU_CYCLE_1)
	s_xor_b32 s24, exec_lo, s24
	s_cbranch_execz .LBB4_338
; %bb.337:                              ;   in Loop: Header=BB4_231 Depth=1
	ds_store_b32 v0, v80
	s_trap 2
.LBB4_338:                              ;   in Loop: Header=BB4_231 Depth=1
	s_or_b32 exec_lo, exec_lo, s23
	;;#ASMSTART
	s_wakeup
	;;#ASMEND
.LBB4_339:                              ;   in Loop: Header=BB4_231 Depth=1
	s_or_b32 exec_lo, exec_lo, s22
.LBB4_340:                              ;   in Loop: Header=BB4_231 Depth=1
	s_and_not1_saveexec_b32 s21, s21
	s_cbranch_execz .LBB4_342
; %bb.341:                              ;   in Loop: Header=BB4_231 Depth=1
	global_wb scope:SCOPE_DEV
	s_wait_storecnt 0x0
	s_wait_loadcnt_dscnt 0x0
	global_inv scope:SCOPE_DEV
	s_barrier_signal -1
	s_barrier_wait -1
.LBB4_342:                              ;   in Loop: Header=BB4_231 Depth=1
	s_or_b32 exec_lo, exec_lo, s21
.LBB4_343:                              ;   in Loop: Header=BB4_231 Depth=1
	s_delay_alu instid0(SALU_CYCLE_1) | instskip(SKIP_1) | instid1(VALU_DEP_1)
	s_or_b32 exec_lo, exec_lo, s20
	v_and_b32_e32 v28, 16, v30
	v_cmp_ne_u32_e32 vcc_lo, 0, v28
	s_and_b32 s20, vcc_lo, s7
	s_delay_alu instid0(SALU_CYCLE_1)
	s_and_saveexec_b32 s7, s20
	s_cbranch_execz .LBB4_345
; %bb.344:                              ;   in Loop: Header=BB4_231 Depth=1
	global_wb scope:SCOPE_SYS
	s_wait_storecnt 0x0
	s_wait_loadcnt_dscnt 0x0
	global_inv scope:SCOPE_SYS
.LBB4_345:                              ;   in Loop: Header=BB4_231 Depth=1
	s_or_b32 exec_lo, exec_lo, s7
	v_and_b32_e32 v28, 32, v30
	s_mov_b32 s7, exec_lo
	s_delay_alu instid0(VALU_DEP_1)
	v_cmpx_ne_u32_e32 0, v28
	s_cbranch_execz .LBB4_347
; %bb.346:                              ;   in Loop: Header=BB4_231 Depth=1
	v_add_nc_u64_e32 v[8:9], 1, v[8:9]
	global_wb scope:SCOPE_SYS
	s_wait_storecnt 0x0
	s_wait_loadcnt_dscnt 0x0
	flat_store_b64 v[18:19], v[8:9] scope:SCOPE_SYS
.LBB4_347:                              ;   in Loop: Header=BB4_231 Depth=1
	s_wait_xcnt 0x0
	s_or_b32 exec_lo, exec_lo, s7
	v_mov_b32_e32 v64, v51
.LBB4_348:                              ;   in Loop: Header=BB4_231 Depth=1
	s_or_b32 exec_lo, exec_lo, s19
	s_and_saveexec_b32 s19, s18
	s_cbranch_execz .LBB4_230
; %bb.349:                              ;   in Loop: Header=BB4_231 Depth=1
	v_and_b32_e32 v28, 4, v30
	s_mov_b32 s18, exec_lo
	s_delay_alu instid0(VALU_DEP_1)
	v_cmpx_ne_u32_e32 0, v28
	s_cbranch_execz .LBB4_371
; %bb.350:                              ;   in Loop: Header=BB4_231 Depth=1
	v_add_nc_u64_e32 v[52:53], 1, v[8:9]
	s_mov_b32 s20, exec_lo
	s_wait_loadcnt 0x0
	s_delay_alu instid0(VALU_DEP_1)
	v_cmpx_lt_u64_e64 v[24:25], v[52:53]
	s_cbranch_execz .LBB4_362
; %bb.351:                              ;   in Loop: Header=BB4_231 Depth=1
	v_and_b32_e32 v9, 64, v30
	s_mov_b32 s21, 0
	s_mov_b32 s25, 0
                                        ; implicit-def: $sgpr22
                                        ; implicit-def: $sgpr23
                                        ; implicit-def: $sgpr24
	s_delay_alu instid0(VALU_DEP_1)
	v_cmp_eq_u32_e32 vcc_lo, 0, v9
	s_branch .LBB4_355
.LBB4_352:                              ;   in Loop: Header=BB4_355 Depth=2
	s_wait_loadcnt_dscnt 0x0
	v_cmp_ge_u64_e64 s7, v[24:25], v[52:53]
	s_or_b32 s28, s28, exec_lo
	s_or_not1_b32 s27, s7, exec_lo
.LBB4_353:                              ;   in Loop: Header=BB4_355 Depth=2
	s_or_b32 exec_lo, exec_lo, s40
	s_delay_alu instid0(SALU_CYCLE_1)
	s_and_not1_b32 s7, s24, exec_lo
	s_and_b32 s24, s28, exec_lo
	s_and_not1_b32 s23, s23, exec_lo
	s_and_b32 s27, s27, exec_lo
	s_or_b32 s24, s7, s24
	s_or_b32 s23, s23, s27
.LBB4_354:                              ;   in Loop: Header=BB4_355 Depth=2
	s_or_b32 exec_lo, exec_lo, s26
	s_delay_alu instid0(SALU_CYCLE_1) | instskip(NEXT) | instid1(SALU_CYCLE_1)
	s_and_b32 s7, exec_lo, s23
	s_or_b32 s21, s7, s21
	s_and_not1_b32 s7, s22, exec_lo
	s_and_b32 s22, s24, exec_lo
	s_delay_alu instid0(SALU_CYCLE_1)
	s_or_b32 s22, s7, s22
	s_and_not1_b32 exec_lo, exec_lo, s21
	s_cbranch_execz .LBB4_359
.LBB4_355:                              ;   Parent Loop BB4_231 Depth=1
                                        ; =>  This Inner Loop Header: Depth=2
	s_sleep 1
	s_wait_loadcnt_dscnt 0x0
	flat_load_b64 v[24:25], v[18:19] scope:SCOPE_SYS
	s_or_b32 s24, s24, exec_lo
	s_or_b32 s23, s23, exec_lo
                                        ; implicit-def: $vgpr9
	s_wait_xcnt 0x0
	s_and_saveexec_b32 s26, vcc_lo
	s_cbranch_execz .LBB4_354
; %bb.356:                              ;   in Loop: Header=BB4_355 Depth=2
	s_cmp_lt_i32 s25, 0x270f
	s_mov_b32 s27, -1
	s_cselect_b32 s29, -1, 0
	s_cmp_gt_i32 s25, 0x270e
	s_cbranch_scc0 .LBB4_358
; %bb.357:                              ;   in Loop: Header=BB4_355 Depth=2
	s_trap 2
	ds_load_b64 v[54:55], v0
	s_and_not1_b32 s25, s29, exec_lo
	s_mov_b32 s28, 0
	s_wait_storecnt 0x0
	s_wait_loadcnt_dscnt 0x0
	flat_load_b32 v9, v[54:55] scope:SCOPE_SYS
	s_wait_loadcnt_dscnt 0x0
	global_inv scope:SCOPE_SYS
	v_cmp_eq_u32_e64 s7, 0, v9
	s_and_b32 s7, s7, exec_lo
	s_delay_alu instid0(SALU_CYCLE_1)
	s_or_b32 s29, s25, s7
	s_mov_b32 s25, 0
	s_and_saveexec_b32 s40, s29
	s_cbranch_execz .LBB4_353
	s_branch .LBB4_352
.LBB4_358:                              ;   in Loop: Header=BB4_355 Depth=2
	s_add_co_i32 s25, s25, 1
	s_mov_b32 s28, -1
                                        ; implicit-def: $vgpr9
	s_and_saveexec_b32 s40, s29
	s_cbranch_execz .LBB4_353
	s_branch .LBB4_352
.LBB4_359:                              ;   in Loop: Header=BB4_231 Depth=1
	s_or_b32 exec_lo, exec_lo, s21
	s_xor_b32 s7, s22, -1
	s_delay_alu instid0(SALU_CYCLE_1) | instskip(NEXT) | instid1(SALU_CYCLE_1)
	s_and_saveexec_b32 s21, s7
	s_xor_b32 s7, exec_lo, s21
	s_cbranch_execz .LBB4_361
; %bb.360:                              ;   in Loop: Header=BB4_231 Depth=1
	v_or_b32_e32 v30, 64, v30
	s_wait_storecnt 0x0
	s_wait_loadcnt_dscnt 0x0
	ds_store_b32 v0, v9
	s_trap 2
.LBB4_361:                              ;   in Loop: Header=BB4_231 Depth=1
	s_or_b32 exec_lo, exec_lo, s7
.LBB4_362:                              ;   in Loop: Header=BB4_231 Depth=1
	s_delay_alu instid0(SALU_CYCLE_1) | instskip(SKIP_4) | instid1(VALU_DEP_2)
	s_or_b32 exec_lo, exec_lo, s20
	v_and_b32_e32 v9, 0x100, v30
	v_and_b32_e32 v28, 7, v8
	s_mov_b32 s7, -1
	;;#ASMSTART
	s_wakeup
	;;#ASMEND
	v_cmp_ne_u32_e32 vcc_lo, 0, v9
                                        ; implicit-def: $vgpr8_vgpr9
	s_and_saveexec_b32 s20, vcc_lo
	s_cbranch_execz .LBB4_366
; %bb.363:                              ;   in Loop: Header=BB4_231 Depth=1
	v_mad_nc_u64_u32 v[54:55], v28, 24, v[6:7]
	flat_load_b32 v8, v[54:55]
	s_wait_loadcnt_dscnt 0x0
	v_cmp_eq_u32_e64 s7, 1, v8
	v_cmp_ne_u32_e32 vcc_lo, 1, v8
                                        ; implicit-def: $vgpr8_vgpr9
	s_wait_xcnt 0x0
	s_and_saveexec_b32 s21, s7
	s_cbranch_execz .LBB4_365
; %bb.364:                              ;   in Loop: Header=BB4_231 Depth=1
	flat_load_b32 v8, v[54:55] offset:4 scope:SCOPE_SYS
	s_wait_loadcnt_dscnt 0x0
	v_ashrrev_i32_e32 v9, 31, v8
	s_delay_alu instid0(VALU_DEP_1)
	v_lshrrev_b64 v[8:9], 3, v[8:9]
.LBB4_365:                              ;   in Loop: Header=BB4_231 Depth=1
	s_wait_xcnt 0x0
	s_or_b32 exec_lo, exec_lo, s21
	s_delay_alu instid0(SALU_CYCLE_1)
	s_or_not1_b32 s7, vcc_lo, exec_lo
.LBB4_366:                              ;   in Loop: Header=BB4_231 Depth=1
	s_or_b32 exec_lo, exec_lo, s20
	s_and_saveexec_b32 s20, s7
; %bb.367:                              ;   in Loop: Header=BB4_231 Depth=1
	v_mul_u64_e32 v[8:9], v[28:29], v[20:21]
; %bb.368:                              ;   in Loop: Header=BB4_231 Depth=1
	s_or_b32 exec_lo, exec_lo, s20
	v_and_b32_e32 v28, 0x2000, v30
	s_delay_alu instid0(VALU_DEP_2)
	v_lshl_add_u64 v[8:9], v[8:9], 3, v[22:23]
	s_mov_b32 s7, exec_lo
	ds_store_b64 v0, v[8:9] offset:728
	v_cmpx_ne_u32_e32 0, v28
	s_cbranch_execz .LBB4_370
; %bb.369:                              ;   in Loop: Header=BB4_231 Depth=1
	ds_load_b64 v[8:9], v0 offset:872
	s_wait_dscnt 0x0
	v_add_nc_u64_e32 v[8:9], 1, v[8:9]
	ds_store_b64 v0, v[8:9] offset:872
.LBB4_370:                              ;   in Loop: Header=BB4_231 Depth=1
	s_or_b32 exec_lo, exec_lo, s7
	v_mov_b64_e32 v[8:9], v[52:53]
.LBB4_371:                              ;   in Loop: Header=BB4_231 Depth=1
	s_or_b32 exec_lo, exec_lo, s18
	s_and_saveexec_b32 s7, s2
	s_cbranch_execz .LBB4_390
; %bb.372:                              ;   in Loop: Header=BB4_231 Depth=1
	s_and_saveexec_b32 s18, s3
	s_delay_alu instid0(SALU_CYCLE_1)
	s_xor_b32 s18, exec_lo, s18
	s_cbranch_execz .LBB4_387
; %bb.373:                              ;   in Loop: Header=BB4_231 Depth=1
	s_and_saveexec_b32 s20, s4
	s_cbranch_execz .LBB4_386
; %bb.374:                              ;   in Loop: Header=BB4_231 Depth=1
	s_mov_b32 s22, exec_lo
	s_mov_b32 s21, exec_lo
	v_mbcnt_lo_u32_b32 v28, s22, 0
	global_wb scope:SCOPE_DEV
	s_wait_storecnt 0x0
	s_wait_loadcnt_dscnt 0x0
	global_inv scope:SCOPE_DEV
	v_cmpx_eq_u32_e32 0, v28
	s_cbranch_execz .LBB4_376
; %bb.375:                              ;   in Loop: Header=BB4_231 Depth=1
	s_bcnt1_i32_b32 s22, s22
	s_delay_alu instid0(SALU_CYCLE_1)
	v_mov_b32_e32 v28, s22
	s_wait_loadcnt 0x0
	ds_add_u64 v0, v[28:29]
	s_trap 2
.LBB4_376:                              ;   in Loop: Header=BB4_231 Depth=1
	s_or_b32 exec_lo, exec_lo, s21
	s_trap 2
	ds_load_b64 v[52:53], v0
	s_wait_dscnt 0x0
	v_add_nc_u64_e32 v[10:11], v[10:11], v[26:27]
	s_mov_b32 s21, exec_lo
	s_delay_alu instid0(VALU_DEP_1)
	v_cmpx_lt_u64_e64 v[52:53], v[10:11]
	s_cbranch_execz .LBB4_385
; %bb.377:                              ;   in Loop: Header=BB4_231 Depth=1
	s_mov_b32 s22, 0
	s_mov_b32 s25, 0
                                        ; implicit-def: $sgpr23
                                        ; implicit-def: $sgpr24
	s_branch .LBB4_379
.LBB4_378:                              ;   in Loop: Header=BB4_379 Depth=2
	s_or_b32 exec_lo, exec_lo, s27
	s_delay_alu instid0(SALU_CYCLE_1) | instskip(NEXT) | instid1(SALU_CYCLE_1)
	s_and_b32 s26, exec_lo, s28
	s_or_b32 s22, s26, s22
	s_and_not1_b32 s23, s23, exec_lo
	s_and_b32 s26, s24, exec_lo
	s_delay_alu instid0(SALU_CYCLE_1)
	s_or_b32 s23, s23, s26
	s_and_not1_b32 exec_lo, exec_lo, s22
	s_cbranch_execz .LBB4_383
.LBB4_379:                              ;   Parent Loop BB4_231 Depth=1
                                        ; =>  This Inner Loop Header: Depth=2
	s_add_co_i32 s25, s25, 1
	s_delay_alu instid0(SALU_CYCLE_1) | instskip(SKIP_1) | instid1(SALU_CYCLE_1)
	s_cmp_lg_u32 s25, 0x2710
	s_cselect_b32 s26, -1, 0
	s_and_b32 vcc_lo, exec_lo, s26
	s_cbranch_vccz .LBB4_381
; %bb.380:                              ;   in Loop: Header=BB4_379 Depth=2
	s_mov_b32 s28, -1
	s_or_b32 s24, s24, exec_lo
	s_and_saveexec_b32 s27, s26
	s_cbranch_execz .LBB4_378
	s_branch .LBB4_382
.LBB4_381:                              ;   in Loop: Header=BB4_379 Depth=2
	s_trap 2
	ds_load_b64 v[52:53], v0
	s_and_not1_b32 s26, s26, exec_lo
	s_mov_b32 s25, 0
	s_wait_loadcnt_dscnt 0x0
	flat_load_b32 v28, v[52:53] scope:SCOPE_SYS
	s_wait_loadcnt_dscnt 0x0
	global_inv scope:SCOPE_SYS
	v_cmp_eq_u32_e32 vcc_lo, 0, v28
	s_and_b32 s27, vcc_lo, exec_lo
	s_delay_alu instid0(SALU_CYCLE_1)
	s_or_b32 s26, s26, s27
	s_mov_b32 s28, -1
	s_or_b32 s24, s24, exec_lo
	s_and_saveexec_b32 s27, s26
	s_cbranch_execz .LBB4_378
.LBB4_382:                              ;   in Loop: Header=BB4_379 Depth=2
	s_sleep 1
	s_trap 2
	ds_load_b64 v[52:53], v0
	s_wait_dscnt 0x0
	s_and_not1_b32 s24, s24, exec_lo
	v_cmp_ge_u64_e32 vcc_lo, v[52:53], v[10:11]
	s_or_not1_b32 s28, vcc_lo, exec_lo
	s_branch .LBB4_378
.LBB4_383:                              ;   in Loop: Header=BB4_231 Depth=1
	s_or_b32 exec_lo, exec_lo, s22
	s_and_saveexec_b32 s22, s23
	s_delay_alu instid0(SALU_CYCLE_1)
	s_xor_b32 s22, exec_lo, s22
	s_cbranch_execz .LBB4_385
; %bb.384:                              ;   in Loop: Header=BB4_231 Depth=1
	ds_store_b32 v0, v80
	s_trap 2
.LBB4_385:                              ;   in Loop: Header=BB4_231 Depth=1
	s_or_b32 exec_lo, exec_lo, s21
	;;#ASMSTART
	s_wakeup
	;;#ASMEND
.LBB4_386:                              ;   in Loop: Header=BB4_231 Depth=1
	s_or_b32 exec_lo, exec_lo, s20
.LBB4_387:                              ;   in Loop: Header=BB4_231 Depth=1
	s_and_not1_saveexec_b32 s18, s18
	s_cbranch_execz .LBB4_389
; %bb.388:                              ;   in Loop: Header=BB4_231 Depth=1
	global_wb scope:SCOPE_DEV
	s_wait_storecnt 0x0
	s_wait_loadcnt_dscnt 0x0
	global_inv scope:SCOPE_DEV
	s_barrier_signal -1
	s_barrier_wait -1
.LBB4_389:                              ;   in Loop: Header=BB4_231 Depth=1
	s_or_b32 exec_lo, exec_lo, s18
.LBB4_390:                              ;   in Loop: Header=BB4_231 Depth=1
	s_delay_alu instid0(SALU_CYCLE_1)
	s_or_b32 exec_lo, exec_lo, s7
	s_trap 2
	ds_load_b32 v28, v0
	v_sub_nc_u32_e32 v50, v50, v64
	s_wait_dscnt 0x0
	v_readfirstlane_b32 s7, v28
	v_and_b32_e32 v28, 16, v30
	s_delay_alu instid0(VALU_DEP_3) | instskip(SKIP_1) | instid1(VALU_DEP_2)
	v_min_i32_e32 v50, v51, v50
	s_cmp_eq_u32 s7, 0
	v_cmp_ne_u32_e64 s7, 0, v28
	s_delay_alu instid0(VALU_DEP_2) | instskip(SKIP_1) | instid1(SALU_CYCLE_1)
	v_cmp_lt_i32_e32 vcc_lo, 0, v50
	s_cselect_b32 s18, -1, 0
	s_and_b32 s18, vcc_lo, s18
	s_delay_alu instid0(SALU_CYCLE_1) | instskip(NEXT) | instid1(SALU_CYCLE_1)
	s_and_b32 s18, s7, s18
	s_and_saveexec_b32 s7, s18
	s_cbranch_execz .LBB4_392
; %bb.391:                              ;   in Loop: Header=BB4_231 Depth=1
	global_wb scope:SCOPE_SYS
	s_wait_loadcnt 0x0
	s_wait_storecnt 0x0
	global_inv scope:SCOPE_SYS
.LBB4_392:                              ;   in Loop: Header=BB4_231 Depth=1
	s_or_b32 exec_lo, exec_lo, s7
	v_and_b32_e32 v28, 32, v30
	s_mov_b32 s7, exec_lo
	s_delay_alu instid0(VALU_DEP_1)
	v_cmpx_ne_u32_e32 0, v28
	s_cbranch_execz .LBB4_229
; %bb.393:                              ;   in Loop: Header=BB4_231 Depth=1
	v_add_nc_u64_e32 v[8:9], 1, v[8:9]
	global_wb scope:SCOPE_SYS
	s_wait_loadcnt 0x0
	s_wait_storecnt 0x0
	flat_store_b64 v[18:19], v[8:9] scope:SCOPE_SYS
	s_branch .LBB4_229
.LBB4_394:
	s_or_b32 exec_lo, exec_lo, s15
.LBB4_395:
	s_delay_alu instid0(SALU_CYCLE_1)
	s_or_b32 exec_lo, exec_lo, s14
.LBB4_396:
	s_delay_alu instid0(SALU_CYCLE_1)
	s_or_b32 exec_lo, exec_lo, s13
                                        ; implicit-def: $vgpr14_vgpr15
                                        ; implicit-def: $vgpr4_vgpr5
                                        ; implicit-def: $vgpr26_vgpr27
                                        ; implicit-def: $vgpr20
                                        ; implicit-def: $vgpr24_vgpr25
                                        ; implicit-def: $vgpr22_vgpr23
                                        ; implicit-def: $vgpr18_vgpr19
                                        ; implicit-def: $vgpr0
                                        ; implicit-def: $vgpr51
                                        ; implicit-def: $vgpr12_vgpr13
.LBB4_397:
	s_and_not1_saveexec_b32 s12, s12
	s_cbranch_execz .LBB4_573
; %bb.398:
	v_mov_b64_e32 v[10:11], 0
	s_mov_b32 s13, exec_lo
	v_cmpx_ne_u64_e32 0, v[4:5]
	s_cbranch_execz .LBB4_572
; %bb.399:
	v_dual_ashrrev_i32 v10, 31, v0 :: v_dual_bitop2_b32 v11, 31, v31 bitop3:0x40
	v_dual_ashrrev_i32 v21, 31, v20 :: v_dual_mov_b32 v33, 0
	s_delay_alu instid0(VALU_DEP_2)
	v_dual_lshlrev_b32 v32, 3, v1 :: v_dual_lshrrev_b32 v10, 27, v10
	s_lshr_b32 s5, s10, 27
	v_cmp_eq_u32_e32 vcc_lo, 32, v1
	s_wait_dscnt 0x0
	v_mov_b64_e32 v[34:35], 0
	v_cmp_ne_u64_e64 s4, 0, v[26:27]
	v_dual_add_nc_u32 v10, v0, v10 :: v_dual_lshrrev_b32 v28, 5, v1
	s_add_co_i32 s10, s10, s5
	v_cmp_eq_u32_e64 s5, 0, v11
	v_mov_b64_e32 v[52:53], 0
	s_delay_alu instid0(VALU_DEP_3) | instskip(SKIP_4) | instid1(VALU_DEP_4)
	v_and_b32_e32 v29, 0xffffffe0, v10
	v_ashrrev_i32_e32 v80, 5, v10
	v_cmp_ge_i32_e64 s1, v0, v1
	v_cmp_ne_u32_e64 s2, 32, v1
	v_cmp_ne_u32_e64 s3, v1, v82
	v_dual_sub_nc_u32 v81, v0, v29 :: v_dual_lshlrev_b32 v10, 11, v80
	v_dual_mov_b32 v29, v33 :: v_dual_lshlrev_b32 v36, 11, v28
	v_dual_mov_b32 v37, v33 :: v_dual_lshlrev_b32 v38, 9, v28
	v_mov_b32_e32 v39, v33
	s_delay_alu instid0(VALU_DEP_4)
	v_lshl_add_u32 v48, v81, 4, v10
	v_mov_b64_e32 v[10:11], 0
	v_and_b32_e32 v50, 0xff00, v32
	v_cmp_gt_i32_e64 s6, 1, v81
	v_cmp_lt_i32_e64 s7, v81, v51
	v_dual_ashrrev_i32 v49, 31, v48 :: v_dual_mov_b32 v51, v33
	v_mov_b32_e32 v83, 1
	s_ashr_i32 s15, s10, 5
	s_mov_b32 s14, 0
	s_xor_b32 s16, vcc_lo, -1
	s_trap 2
	s_branch .LBB4_403
.LBB4_400:                              ;   in Loop: Header=BB4_403 Depth=1
	s_wait_xcnt 0x0
	s_or_b32 exec_lo, exec_lo, s17
	v_add_nc_u64_e32 v[8:9], 1, v[8:9]
	global_wb scope:SCOPE_SYS
	s_wait_storecnt 0x0
	s_wait_loadcnt_dscnt 0x0
	flat_store_b64 v[18:19], v[8:9] scope:SCOPE_SYS
.LBB4_401:                              ;   in Loop: Header=BB4_403 Depth=1
	s_wait_xcnt 0x0
	s_or_b32 exec_lo, exec_lo, s10
.LBB4_402:                              ;   in Loop: Header=BB4_403 Depth=1
	s_delay_alu instid0(SALU_CYCLE_1) | instskip(SKIP_1) | instid1(VALU_DEP_1)
	s_or_b32 exec_lo, exec_lo, s18
	v_add_nc_u64_e32 v[52:53], v[52:53], v[12:13]
	v_cmp_ge_u64_e32 vcc_lo, v[52:53], v[4:5]
	s_or_b32 s14, vcc_lo, s14
	s_delay_alu instid0(SALU_CYCLE_1)
	s_and_not1_b32 exec_lo, exec_lo, s14
	s_cbranch_execz .LBB4_571
.LBB4_403:                              ; =>This Loop Header: Depth=1
                                        ;     Child Loop BB4_412 Depth 2
                                        ;     Child Loop BB4_436 Depth 2
	;; [unrolled: 1-line block ×10, first 2 shown]
	v_sub_nc_u64_e32 v[54:55], v[4:5], v[52:53]
	s_delay_alu instid0(VALU_DEP_1) | instskip(NEXT) | instid1(VALU_DEP_1)
	v_min_u64 v[54:55], v[12:13], v[54:55]
	v_add_nc_u32_e32 v32, 15, v54
	s_delay_alu instid0(VALU_DEP_2) | instskip(NEXT) | instid1(VALU_DEP_2)
	v_cmp_eq_u64_e32 vcc_lo, 0, v[54:55]
	v_and_b32_e32 v32, 0xffffff0, v32
	s_or_b32 s17, s1, vcc_lo
	s_delay_alu instid0(SALU_CYCLE_1) | instskip(NEXT) | instid1(VALU_DEP_1)
	s_xor_b32 s10, s17, -1
	v_dual_mov_b32 v32, 0 :: v_dual_max_i32 v55, s15, v32
	s_and_saveexec_b32 s18, s10
	s_cbranch_execz .LBB4_522
; %bb.404:                              ;   in Loop: Header=BB4_403 Depth=1
	s_and_saveexec_b32 s10, s0
	s_cbranch_execz .LBB4_406
; %bb.405:                              ;   in Loop: Header=BB4_403 Depth=1
	s_trap 2
	ds_load_b64 v[64:65], v0
	s_wait_dscnt 0x0
	v_lshl_add_u64 v[64:65], v[14:15], 3, v[64:65]
	s_delay_alu instid0(VALU_DEP_1)
	v_lshl_add_u64 v[64:65], v[52:53], 3, v[64:65]
	ds_store_b64 v0, v[64:65]
	ds_store_b64 v0, v[34:35]
.LBB4_406:                              ;   in Loop: Header=BB4_403 Depth=1
	s_or_b32 exec_lo, exec_lo, s10
	v_and_b32_e32 v32, 8, v30
	v_min_u32_e32 v55, v55, v54
	s_mov_b32 s19, exec_lo
	s_delay_alu instid0(VALU_DEP_2)
	v_cmpx_ne_u32_e32 0, v32
	s_cbranch_execz .LBB4_428
; %bb.407:                              ;   in Loop: Header=BB4_403 Depth=1
	s_wait_loadcnt 0x0
	v_add_nc_u64_e32 v[66:67], 8, v[24:25]
	v_add_nc_u64_e32 v[64:65], 1, v[8:9]
	s_mov_b32 s20, exec_lo
	s_delay_alu instid0(VALU_DEP_1)
	v_cmpx_lt_u64_e64 v[66:67], v[64:65]
	s_cbranch_execz .LBB4_419
; %bb.408:                              ;   in Loop: Header=BB4_403 Depth=1
	v_and_b32_e32 v9, 64, v30
	s_mov_b32 s21, 0
	s_mov_b32 s25, 0
                                        ; implicit-def: $sgpr22
                                        ; implicit-def: $sgpr23
                                        ; implicit-def: $sgpr24
	s_delay_alu instid0(VALU_DEP_1)
	v_cmp_eq_u32_e32 vcc_lo, 0, v9
	s_branch .LBB4_412
.LBB4_409:                              ;   in Loop: Header=BB4_412 Depth=2
	s_wait_loadcnt_dscnt 0x0
	v_add_nc_u64_e32 v[66:67], 8, v[24:25]
	s_or_b32 s28, s28, exec_lo
	s_delay_alu instid0(VALU_DEP_1)
	v_cmp_ge_u64_e64 s10, v[66:67], v[64:65]
	s_or_not1_b32 s27, s10, exec_lo
.LBB4_410:                              ;   in Loop: Header=BB4_412 Depth=2
	s_or_b32 exec_lo, exec_lo, s40
	s_delay_alu instid0(SALU_CYCLE_1)
	s_and_not1_b32 s10, s24, exec_lo
	s_and_b32 s24, s28, exec_lo
	s_and_not1_b32 s23, s23, exec_lo
	s_and_b32 s27, s27, exec_lo
	s_or_b32 s24, s10, s24
	s_or_b32 s23, s23, s27
.LBB4_411:                              ;   in Loop: Header=BB4_412 Depth=2
	s_or_b32 exec_lo, exec_lo, s26
	s_delay_alu instid0(SALU_CYCLE_1) | instskip(NEXT) | instid1(SALU_CYCLE_1)
	s_and_b32 s10, exec_lo, s23
	s_or_b32 s21, s10, s21
	s_and_not1_b32 s10, s22, exec_lo
	s_and_b32 s22, s24, exec_lo
	s_delay_alu instid0(SALU_CYCLE_1)
	s_or_b32 s22, s10, s22
	s_and_not1_b32 exec_lo, exec_lo, s21
	s_cbranch_execz .LBB4_416
.LBB4_412:                              ;   Parent Loop BB4_403 Depth=1
                                        ; =>  This Inner Loop Header: Depth=2
	s_sleep 1
	s_wait_loadcnt_dscnt 0x0
	flat_load_b64 v[24:25], v[18:19] scope:SCOPE_SYS
	s_or_b32 s24, s24, exec_lo
	s_or_b32 s23, s23, exec_lo
                                        ; implicit-def: $vgpr9
	s_wait_xcnt 0x0
	s_and_saveexec_b32 s26, vcc_lo
	s_cbranch_execz .LBB4_411
; %bb.413:                              ;   in Loop: Header=BB4_412 Depth=2
	s_cmp_lt_i32 s25, 0x270f
	s_mov_b32 s27, -1
	s_cselect_b32 s29, -1, 0
	s_cmp_gt_i32 s25, 0x270e
	s_cbranch_scc0 .LBB4_415
; %bb.414:                              ;   in Loop: Header=BB4_412 Depth=2
	s_trap 2
	ds_load_b64 v[66:67], v0
	s_and_not1_b32 s25, s29, exec_lo
	s_mov_b32 s28, 0
	s_wait_storecnt 0x0
	s_wait_loadcnt_dscnt 0x0
	flat_load_b32 v9, v[66:67] scope:SCOPE_SYS
	s_wait_loadcnt_dscnt 0x0
	global_inv scope:SCOPE_SYS
	v_cmp_eq_u32_e64 s10, 0, v9
	s_and_b32 s10, s10, exec_lo
	s_delay_alu instid0(SALU_CYCLE_1)
	s_or_b32 s29, s25, s10
	s_mov_b32 s25, 0
	s_and_saveexec_b32 s40, s29
	s_cbranch_execz .LBB4_410
	s_branch .LBB4_409
.LBB4_415:                              ;   in Loop: Header=BB4_412 Depth=2
	s_add_co_i32 s25, s25, 1
	s_mov_b32 s28, -1
                                        ; implicit-def: $vgpr9
	s_and_saveexec_b32 s40, s29
	s_cbranch_execz .LBB4_410
	s_branch .LBB4_409
.LBB4_416:                              ;   in Loop: Header=BB4_403 Depth=1
	s_or_b32 exec_lo, exec_lo, s21
	s_xor_b32 s10, s22, -1
	s_delay_alu instid0(SALU_CYCLE_1) | instskip(NEXT) | instid1(SALU_CYCLE_1)
	s_and_saveexec_b32 s21, s10
	s_xor_b32 s10, exec_lo, s21
	s_cbranch_execz .LBB4_418
; %bb.417:                              ;   in Loop: Header=BB4_403 Depth=1
	v_or_b32_e32 v30, 64, v30
	s_wait_storecnt 0x0
	s_wait_loadcnt_dscnt 0x0
	ds_store_b32 v0, v9
	s_trap 2
.LBB4_418:                              ;   in Loop: Header=BB4_403 Depth=1
	s_or_b32 exec_lo, exec_lo, s10
.LBB4_419:                              ;   in Loop: Header=BB4_403 Depth=1
	s_delay_alu instid0(SALU_CYCLE_1) | instskip(SKIP_4) | instid1(VALU_DEP_2)
	s_or_b32 exec_lo, exec_lo, s20
	v_and_b32_e32 v9, 0x100, v30
	v_and_b32_e32 v32, 7, v8
	s_mov_b32 s10, -1
	;;#ASMSTART
	s_wakeup
	;;#ASMEND
	v_cmp_ne_u32_e32 vcc_lo, 0, v9
                                        ; implicit-def: $vgpr8_vgpr9
	s_and_saveexec_b32 s20, vcc_lo
	s_cbranch_execz .LBB4_423
; %bb.420:                              ;   in Loop: Header=BB4_403 Depth=1
	v_mad_nc_u64_u32 v[66:67], v32, 24, v[6:7]
	v_dual_mov_b32 v9, v33 :: v_dual_lshlrev_b32 v8, 3, v55
	s_mov_b32 s21, exec_lo
	s_clause 0x1
	flat_load_b32 v68, v[66:67]
	flat_store_b64 v[66:67], v[8:9] offset:8
                                        ; implicit-def: $vgpr8_vgpr9
	s_wait_loadcnt_dscnt 0x1
	v_cmp_ne_u32_e32 vcc_lo, 1, v68
	s_wait_xcnt 0x0
	v_cmpx_eq_u32_e32 1, v68
	s_cbranch_execz .LBB4_422
; %bb.421:                              ;   in Loop: Header=BB4_403 Depth=1
	flat_load_b32 v8, v[66:67] offset:4 scope:SCOPE_SYS
	s_wait_loadcnt_dscnt 0x0
	v_ashrrev_i32_e32 v9, 31, v8
	s_delay_alu instid0(VALU_DEP_1)
	v_lshrrev_b64 v[8:9], 3, v[8:9]
.LBB4_422:                              ;   in Loop: Header=BB4_403 Depth=1
	s_wait_xcnt 0x0
	s_or_b32 exec_lo, exec_lo, s21
	s_delay_alu instid0(SALU_CYCLE_1)
	s_or_not1_b32 s10, vcc_lo, exec_lo
.LBB4_423:                              ;   in Loop: Header=BB4_403 Depth=1
	s_or_b32 exec_lo, exec_lo, s20
	s_and_saveexec_b32 s20, s10
; %bb.424:                              ;   in Loop: Header=BB4_403 Depth=1
	v_mul_u64_e32 v[8:9], v[32:33], v[20:21]
; %bb.425:                              ;   in Loop: Header=BB4_403 Depth=1
	s_or_b32 exec_lo, exec_lo, s20
	v_and_b32_e32 v32, 0x2000, v30
	s_delay_alu instid0(VALU_DEP_2)
	v_lshl_add_u64 v[8:9], v[8:9], 3, v[22:23]
	s_mov_b32 s10, exec_lo
	ds_store_b64 v0, v[8:9] offset:784
	v_cmpx_ne_u32_e32 0, v32
	s_cbranch_execz .LBB4_427
; %bb.426:                              ;   in Loop: Header=BB4_403 Depth=1
	ds_load_b64 v[8:9], v0 offset:872
	s_wait_dscnt 0x0
	v_add_nc_u64_e32 v[8:9], 1, v[8:9]
	ds_store_b64 v0, v[8:9] offset:872
.LBB4_427:                              ;   in Loop: Header=BB4_403 Depth=1
	s_or_b32 exec_lo, exec_lo, s10
	v_mov_b64_e32 v[8:9], v[64:65]
.LBB4_428:                              ;   in Loop: Header=BB4_403 Depth=1
	s_or_b32 exec_lo, exec_lo, s19
	s_and_saveexec_b32 s10, s2
	s_cbranch_execz .LBB4_447
; %bb.429:                              ;   in Loop: Header=BB4_403 Depth=1
	s_and_saveexec_b32 s19, s3
	s_delay_alu instid0(SALU_CYCLE_1)
	s_xor_b32 s19, exec_lo, s19
	s_cbranch_execz .LBB4_444
; %bb.430:                              ;   in Loop: Header=BB4_403 Depth=1
	s_and_saveexec_b32 s20, s5
	s_cbranch_execz .LBB4_443
; %bb.431:                              ;   in Loop: Header=BB4_403 Depth=1
	s_mov_b32 s22, exec_lo
	s_mov_b32 s21, exec_lo
	v_mbcnt_lo_u32_b32 v32, s22, 0
	global_wb scope:SCOPE_DEV
	s_wait_storecnt 0x0
	s_wait_loadcnt_dscnt 0x0
	global_inv scope:SCOPE_DEV
	v_cmpx_eq_u32_e32 0, v32
	s_cbranch_execz .LBB4_433
; %bb.432:                              ;   in Loop: Header=BB4_403 Depth=1
	s_bcnt1_i32_b32 s22, s22
	s_delay_alu instid0(SALU_CYCLE_1)
	v_mov_b32_e32 v32, s22
	s_wait_loadcnt 0x0
	ds_add_u64 v0, v[32:33]
	s_trap 2
.LBB4_433:                              ;   in Loop: Header=BB4_403 Depth=1
	s_or_b32 exec_lo, exec_lo, s21
	s_trap 2
	ds_load_b64 v[64:65], v0
	s_wait_dscnt 0x0
	v_add_nc_u64_e32 v[10:11], v[10:11], v[28:29]
	s_mov_b32 s21, exec_lo
	s_delay_alu instid0(VALU_DEP_1)
	v_cmpx_lt_u64_e64 v[64:65], v[10:11]
	s_cbranch_execz .LBB4_442
; %bb.434:                              ;   in Loop: Header=BB4_403 Depth=1
	s_mov_b32 s22, 0
	s_mov_b32 s25, 0
                                        ; implicit-def: $sgpr23
                                        ; implicit-def: $sgpr24
	s_branch .LBB4_436
.LBB4_435:                              ;   in Loop: Header=BB4_436 Depth=2
	s_or_b32 exec_lo, exec_lo, s27
	s_delay_alu instid0(SALU_CYCLE_1) | instskip(NEXT) | instid1(SALU_CYCLE_1)
	s_and_b32 s26, exec_lo, s28
	s_or_b32 s22, s26, s22
	s_and_not1_b32 s23, s23, exec_lo
	s_and_b32 s26, s24, exec_lo
	s_delay_alu instid0(SALU_CYCLE_1)
	s_or_b32 s23, s23, s26
	s_and_not1_b32 exec_lo, exec_lo, s22
	s_cbranch_execz .LBB4_440
.LBB4_436:                              ;   Parent Loop BB4_403 Depth=1
                                        ; =>  This Inner Loop Header: Depth=2
	s_add_co_i32 s25, s25, 1
	s_delay_alu instid0(SALU_CYCLE_1) | instskip(SKIP_1) | instid1(SALU_CYCLE_1)
	s_cmp_lg_u32 s25, 0x2710
	s_cselect_b32 s26, -1, 0
	s_and_b32 vcc_lo, exec_lo, s26
	s_cbranch_vccz .LBB4_438
; %bb.437:                              ;   in Loop: Header=BB4_436 Depth=2
	s_mov_b32 s28, -1
	s_or_b32 s24, s24, exec_lo
	s_and_saveexec_b32 s27, s26
	s_cbranch_execz .LBB4_435
	s_branch .LBB4_439
.LBB4_438:                              ;   in Loop: Header=BB4_436 Depth=2
	s_trap 2
	ds_load_b64 v[64:65], v0
	s_and_not1_b32 s26, s26, exec_lo
	s_mov_b32 s25, 0
	s_wait_loadcnt_dscnt 0x0
	flat_load_b32 v32, v[64:65] scope:SCOPE_SYS
	s_wait_loadcnt_dscnt 0x0
	global_inv scope:SCOPE_SYS
	v_cmp_eq_u32_e32 vcc_lo, 0, v32
	s_and_b32 s27, vcc_lo, exec_lo
	s_delay_alu instid0(SALU_CYCLE_1)
	s_or_b32 s26, s26, s27
	s_mov_b32 s28, -1
	s_or_b32 s24, s24, exec_lo
	s_and_saveexec_b32 s27, s26
	s_cbranch_execz .LBB4_435
.LBB4_439:                              ;   in Loop: Header=BB4_436 Depth=2
	s_sleep 1
	s_trap 2
	ds_load_b64 v[64:65], v0
	s_wait_dscnt 0x0
	s_and_not1_b32 s24, s24, exec_lo
	v_cmp_ge_u64_e32 vcc_lo, v[64:65], v[10:11]
	s_or_not1_b32 s28, vcc_lo, exec_lo
	s_branch .LBB4_435
.LBB4_440:                              ;   in Loop: Header=BB4_403 Depth=1
	s_or_b32 exec_lo, exec_lo, s22
	s_and_saveexec_b32 s22, s23
	s_delay_alu instid0(SALU_CYCLE_1)
	s_xor_b32 s22, exec_lo, s22
	s_cbranch_execz .LBB4_442
; %bb.441:                              ;   in Loop: Header=BB4_403 Depth=1
	ds_store_b32 v0, v83
	s_trap 2
.LBB4_442:                              ;   in Loop: Header=BB4_403 Depth=1
	s_or_b32 exec_lo, exec_lo, s21
	;;#ASMSTART
	s_wakeup
	;;#ASMEND
.LBB4_443:                              ;   in Loop: Header=BB4_403 Depth=1
	s_or_b32 exec_lo, exec_lo, s20
.LBB4_444:                              ;   in Loop: Header=BB4_403 Depth=1
	s_and_not1_saveexec_b32 s19, s19
	s_cbranch_execz .LBB4_446
; %bb.445:                              ;   in Loop: Header=BB4_403 Depth=1
	global_wb scope:SCOPE_DEV
	s_wait_storecnt 0x0
	s_wait_loadcnt_dscnt 0x0
	global_inv scope:SCOPE_DEV
	s_barrier_signal -1
	s_barrier_wait -1
.LBB4_446:                              ;   in Loop: Header=BB4_403 Depth=1
	s_or_b32 exec_lo, exec_lo, s19
.LBB4_447:                              ;   in Loop: Header=BB4_403 Depth=1
	s_delay_alu instid0(SALU_CYCLE_1) | instskip(SKIP_3) | instid1(VALU_DEP_1)
	s_or_b32 exec_lo, exec_lo, s10
	s_trap 2
	ds_load_b32 v68, v0
	v_and_b32_e32 v32, 0x4000, v30
	v_cmp_ne_u32_e32 vcc_lo, 0, v32
	s_and_b32 s19, s16, vcc_lo
	s_delay_alu instid0(SALU_CYCLE_1)
	s_and_saveexec_b32 s10, s19
	s_cbranch_execz .LBB4_466
; %bb.448:                              ;   in Loop: Header=BB4_403 Depth=1
	s_and_saveexec_b32 s19, s3
	s_delay_alu instid0(SALU_CYCLE_1)
	s_xor_b32 s19, exec_lo, s19
	s_cbranch_execz .LBB4_463
; %bb.449:                              ;   in Loop: Header=BB4_403 Depth=1
	s_and_saveexec_b32 s20, s5
	s_cbranch_execz .LBB4_462
; %bb.450:                              ;   in Loop: Header=BB4_403 Depth=1
	s_mov_b32 s22, exec_lo
	s_mov_b32 s21, exec_lo
	v_mbcnt_lo_u32_b32 v32, s22, 0
	global_wb scope:SCOPE_DEV
	s_wait_storecnt 0x0
	s_wait_loadcnt_dscnt 0x0
	global_inv scope:SCOPE_DEV
	v_cmpx_eq_u32_e32 0, v32
	s_cbranch_execz .LBB4_452
; %bb.451:                              ;   in Loop: Header=BB4_403 Depth=1
	s_bcnt1_i32_b32 s22, s22
	s_delay_alu instid0(SALU_CYCLE_1)
	v_mov_b32_e32 v32, s22
	s_wait_loadcnt 0x0
	ds_add_u64 v0, v[32:33]
	s_trap 2
.LBB4_452:                              ;   in Loop: Header=BB4_403 Depth=1
	s_or_b32 exec_lo, exec_lo, s21
	s_trap 2
	ds_load_b64 v[64:65], v0
	s_wait_dscnt 0x0
	v_add_nc_u64_e32 v[10:11], v[10:11], v[28:29]
	s_mov_b32 s21, exec_lo
	s_delay_alu instid0(VALU_DEP_1)
	v_cmpx_lt_u64_e64 v[64:65], v[10:11]
	s_cbranch_execz .LBB4_461
; %bb.453:                              ;   in Loop: Header=BB4_403 Depth=1
	s_mov_b32 s22, 0
	s_mov_b32 s25, 0
                                        ; implicit-def: $sgpr23
                                        ; implicit-def: $sgpr24
	s_branch .LBB4_455
.LBB4_454:                              ;   in Loop: Header=BB4_455 Depth=2
	s_or_b32 exec_lo, exec_lo, s27
	s_delay_alu instid0(SALU_CYCLE_1) | instskip(NEXT) | instid1(SALU_CYCLE_1)
	s_and_b32 s26, exec_lo, s28
	s_or_b32 s22, s26, s22
	s_and_not1_b32 s23, s23, exec_lo
	s_and_b32 s26, s24, exec_lo
	s_delay_alu instid0(SALU_CYCLE_1)
	s_or_b32 s23, s23, s26
	s_and_not1_b32 exec_lo, exec_lo, s22
	s_cbranch_execz .LBB4_459
.LBB4_455:                              ;   Parent Loop BB4_403 Depth=1
                                        ; =>  This Inner Loop Header: Depth=2
	s_add_co_i32 s25, s25, 1
	s_delay_alu instid0(SALU_CYCLE_1) | instskip(SKIP_1) | instid1(SALU_CYCLE_1)
	s_cmp_lg_u32 s25, 0x2710
	s_cselect_b32 s26, -1, 0
	s_and_b32 vcc_lo, exec_lo, s26
	s_cbranch_vccz .LBB4_457
; %bb.456:                              ;   in Loop: Header=BB4_455 Depth=2
	s_mov_b32 s28, -1
	s_or_b32 s24, s24, exec_lo
	s_and_saveexec_b32 s27, s26
	s_cbranch_execz .LBB4_454
	s_branch .LBB4_458
.LBB4_457:                              ;   in Loop: Header=BB4_455 Depth=2
	s_trap 2
	ds_load_b64 v[64:65], v0
	s_and_not1_b32 s26, s26, exec_lo
	s_mov_b32 s25, 0
	s_wait_loadcnt_dscnt 0x0
	flat_load_b32 v32, v[64:65] scope:SCOPE_SYS
	s_wait_loadcnt_dscnt 0x0
	global_inv scope:SCOPE_SYS
	v_cmp_eq_u32_e32 vcc_lo, 0, v32
	s_and_b32 s27, vcc_lo, exec_lo
	s_delay_alu instid0(SALU_CYCLE_1)
	s_or_b32 s26, s26, s27
	s_mov_b32 s28, -1
	s_or_b32 s24, s24, exec_lo
	s_and_saveexec_b32 s27, s26
	s_cbranch_execz .LBB4_454
.LBB4_458:                              ;   in Loop: Header=BB4_455 Depth=2
	s_sleep 1
	s_trap 2
	ds_load_b64 v[64:65], v0
	s_wait_dscnt 0x0
	s_and_not1_b32 s24, s24, exec_lo
	v_cmp_ge_u64_e32 vcc_lo, v[64:65], v[10:11]
	s_or_not1_b32 s28, vcc_lo, exec_lo
	s_branch .LBB4_454
.LBB4_459:                              ;   in Loop: Header=BB4_403 Depth=1
	s_or_b32 exec_lo, exec_lo, s22
	s_and_saveexec_b32 s22, s23
	s_delay_alu instid0(SALU_CYCLE_1)
	s_xor_b32 s22, exec_lo, s22
	s_cbranch_execz .LBB4_461
; %bb.460:                              ;   in Loop: Header=BB4_403 Depth=1
	ds_store_b32 v0, v83
	s_trap 2
.LBB4_461:                              ;   in Loop: Header=BB4_403 Depth=1
	s_or_b32 exec_lo, exec_lo, s21
	;;#ASMSTART
	s_wakeup
	;;#ASMEND
.LBB4_462:                              ;   in Loop: Header=BB4_403 Depth=1
	s_or_b32 exec_lo, exec_lo, s20
.LBB4_463:                              ;   in Loop: Header=BB4_403 Depth=1
	s_and_not1_saveexec_b32 s19, s19
	s_cbranch_execz .LBB4_465
; %bb.464:                              ;   in Loop: Header=BB4_403 Depth=1
	global_wb scope:SCOPE_DEV
	s_wait_storecnt 0x0
	s_wait_loadcnt_dscnt 0x0
	global_inv scope:SCOPE_DEV
	s_barrier_signal -1
	s_barrier_wait -1
.LBB4_465:                              ;   in Loop: Header=BB4_403 Depth=1
	s_or_b32 exec_lo, exec_lo, s19
.LBB4_466:                              ;   in Loop: Header=BB4_403 Depth=1
	s_delay_alu instid0(SALU_CYCLE_1)
	s_or_b32 exec_lo, exec_lo, s10
	s_trap 2
	ds_load_b64 v[64:65], v0
	s_wait_dscnt 0x0
	v_cmp_eq_u64_e32 vcc_lo, 0, v[64:65]
	s_cbranch_vccnz .LBB4_474
; %bb.467:                              ;   in Loop: Header=BB4_403 Depth=1
	s_trap 2
	ds_load_b64 v[66:67], v0
	s_wait_dscnt 0x0
	v_cmp_eq_u64_e32 vcc_lo, 0, v[66:67]
	s_cbranch_vccnz .LBB4_474
; %bb.468:                              ;   in Loop: Header=BB4_403 Depth=1
	s_mov_b32 s10, -1
	s_and_saveexec_b32 s19, s6
	s_cbranch_execz .LBB4_470
; %bb.469:                              ;   in Loop: Header=BB4_403 Depth=1
	ds_load_b32 v32, v0 offset:720
	s_wait_dscnt 0x0
	v_and_b32_e32 v32, 15, v32
	s_delay_alu instid0(VALU_DEP_1)
	v_cmp_eq_u32_e32 vcc_lo, 0, v32
	s_or_not1_b32 s10, vcc_lo, exec_lo
.LBB4_470:                              ;   in Loop: Header=BB4_403 Depth=1
	s_or_b32 exec_lo, exec_lo, s19
	s_and_saveexec_b32 s19, s7
	s_cbranch_execz .LBB4_472
; %bb.471:                              ;   in Loop: Header=BB4_403 Depth=1
	ds_load_b32 v32, v0 offset:784
	s_wait_dscnt 0x0
	v_and_b32_e32 v32, 15, v32
	s_delay_alu instid0(VALU_DEP_1) | instskip(SKIP_3) | instid1(SALU_CYCLE_1)
	v_cmp_eq_u32_e32 vcc_lo, 0, v32
	s_and_b32 s20, s10, vcc_lo
	s_and_not1_b32 s10, s10, exec_lo
	s_and_b32 s20, s20, exec_lo
	s_or_b32 s10, s10, s20
.LBB4_472:                              ;   in Loop: Header=BB4_403 Depth=1
	s_or_b32 exec_lo, exec_lo, s19
	v_cmp_eq_u32_e32 vcc_lo, 0, v68
	s_xor_b32 s10, s10, -1
	s_mov_b32 s20, -1
	v_cndmask_b32_e64 v69, 0, 1, s10
	v_dual_mov_b32 v70, 0 :: v_dual_cndmask_b32 v32, 0, v55, vcc_lo
	s_delay_alu instid0(VALU_DEP_2) | instskip(NEXT) | instid1(VALU_DEP_2)
	v_cmp_ne_u32_e32 vcc_lo, 0, v69
	v_lshlrev_b32_e32 v84, 3, v32
	s_cbranch_vccz .LBB4_475
; %bb.473:                              ;   in Loop: Header=BB4_403 Depth=1
	v_dual_mov_b32 v71, v0 :: v_dual_mov_b32 v68, v80
	s_and_saveexec_b32 s10, s20
	s_cbranch_execnz .LBB4_488
	s_branch .LBB4_496
.LBB4_474:                              ;   in Loop: Header=BB4_403 Depth=1
	s_mov_b32 s10, 0
	s_and_saveexec_b32 s19, s2
	s_cbranch_execnz .LBB4_497
	s_branch .LBB4_515
.LBB4_475:                              ;   in Loop: Header=BB4_403 Depth=1
	v_lshrrev_b32_e32 v85, 8, v32
	s_mov_b32 s10, exec_lo
	s_delay_alu instid0(VALU_DEP_1) | instskip(NEXT) | instid1(VALU_DEP_1)
	v_sub_nc_u32_e32 v86, v85, v80
	v_cmpx_lt_i32_e32 0, v86
	s_cbranch_execz .LBB4_479
; %bb.476:                              ;   in Loop: Header=BB4_403 Depth=1
	v_mov_b64_e32 v[68:69], v[66:67]
	v_mov_b64_e32 v[70:71], v[64:65]
	s_mov_b32 s19, 0
.LBB4_477:                              ;   Parent Loop BB4_403 Depth=1
                                        ; =>  This Inner Loop Header: Depth=2
	s_delay_alu instid0(VALU_DEP_1) | instskip(SKIP_1) | instid1(VALU_DEP_4)
	v_add_nc_u64_e32 v[116:117], v[48:49], v[70:71]
	v_sub_nc_u32_e32 v86, v86, v28
	v_add_nc_u64_e32 v[40:41], v[48:49], v[68:69]
	v_add_nc_u64_e32 v[70:71], v[70:71], v[36:37]
	;; [unrolled: 1-line block ×3, first 2 shown]
	s_clause 0x3
	global_load_b128 v[96:99], v[116:117], off th:TH_LOAD_NT
	global_load_b128 v[100:103], v[116:117], off offset:512 th:TH_LOAD_NT
	global_load_b128 v[112:115], v[116:117], off offset:1024 th:TH_LOAD_NT
	;; [unrolled: 1-line block ×3, first 2 shown]
	v_cmp_gt_i32_e32 vcc_lo, 1, v86
	s_wait_loadcnt 0x3
	global_store_b128 v[40:41], v[96:99], off th:TH_STORE_NT
	s_wait_loadcnt 0x2
	global_store_b128 v[40:41], v[100:103], off offset:512 th:TH_STORE_NT
	s_wait_loadcnt 0x1
	global_store_b128 v[40:41], v[112:115], off offset:1024 th:TH_STORE_NT
	;; [unrolled: 2-line block ×3, first 2 shown]
	s_or_b32 s19, vcc_lo, s19
	s_wait_xcnt 0x0
	s_and_not1_b32 exec_lo, exec_lo, s19
	s_cbranch_execnz .LBB4_477
; %bb.478:                              ;   in Loop: Header=BB4_403 Depth=1
	s_or_b32 exec_lo, exec_lo, s19
.LBB4_479:                              ;   in Loop: Header=BB4_403 Depth=1
	s_delay_alu instid0(SALU_CYCLE_1) | instskip(SKIP_3) | instid1(VALU_DEP_1)
	s_or_b32 exec_lo, exec_lo, s10
	v_dual_mov_b32 v70, 0 :: v_dual_lshlrev_b32 v85, 11, v85
	s_mov_b32 s20, 0
	s_mov_b32 s19, exec_lo
                                        ; implicit-def: $vgpr71
                                        ; implicit-def: $vgpr68
	v_cmpx_ne_u32_e64 v84, v85
	s_cbranch_execz .LBB4_487
; %bb.480:                              ;   in Loop: Header=BB4_403 Depth=1
	v_dual_lshlrev_b32 v68, 5, v86 :: v_dual_sub_nc_u32 v70, v84, v85
	s_mov_b32 s20, exec_lo
	s_delay_alu instid0(VALU_DEP_1) | instskip(NEXT) | instid1(VALU_DEP_1)
	v_dual_sub_nc_u32 v68, v81, v68 :: v_dual_ashrrev_i32 v71, 31, v70
	v_dual_ashrrev_i32 v69, 31, v68 :: v_dual_lshrrev_b32 v71, 23, v71
	s_delay_alu instid0(VALU_DEP_1) | instskip(NEXT) | instid1(VALU_DEP_1)
	v_lshrrev_b32_e32 v69, 27, v69
	v_add_nc_u32_e32 v69, v68, v69
	s_delay_alu instid0(VALU_DEP_1) | instskip(NEXT) | instid1(VALU_DEP_1)
	v_and_b32_e32 v86, 0xffffffe0, v69
	v_dual_add_nc_u32 v71, v70, v71 :: v_dual_sub_nc_u32 v87, v68, v86
	s_delay_alu instid0(VALU_DEP_1) | instskip(SKIP_1) | instid1(VALU_DEP_2)
	v_and_b32_e32 v86, 0xfffffe00, v71
	v_dual_ashrrev_i32 v69, 5, v69 :: v_dual_ashrrev_i32 v71, 9, v71
	v_dual_lshlrev_b32 v68, 4, v87 :: v_dual_sub_nc_u32 v96, v70, v86
	s_delay_alu instid0(VALU_DEP_1) | instskip(NEXT) | instid1(VALU_DEP_2)
	v_lshl_add_u32 v68, v69, 9, v68
	v_cmp_lt_i32_e32 vcc_lo, 15, v96
	s_delay_alu instid0(VALU_DEP_4) | instskip(NEXT) | instid1(VALU_DEP_1)
	v_add_co_ci_u32_e64 v71, null, 0, v71, vcc_lo
	v_dual_sub_nc_u32 v70, v70, v68 :: v_dual_sub_nc_u32 v97, v71, v69
	s_delay_alu instid0(VALU_DEP_1)
	v_cmpx_lt_i32_e32 15, v70
	s_cbranch_execz .LBB4_484
; %bb.481:                              ;   in Loop: Header=BB4_403 Depth=1
	v_add_nc_u32_e32 v68, v68, v85
	s_mov_b32 s21, 0
	s_delay_alu instid0(VALU_DEP_1)
	v_ashrrev_i32_e32 v69, 31, v68
.LBB4_482:                              ;   Parent Loop BB4_403 Depth=1
                                        ; =>  This Inner Loop Header: Depth=2
	s_delay_alu instid0(VALU_DEP_1) | instskip(SKIP_3) | instid1(VALU_DEP_3)
	v_add_nc_u64_e32 v[98:99], v[64:65], v[68:69]
	v_dual_sub_nc_u32 v70, v70, v38 :: v_dual_sub_nc_u32 v97, v97, v28
	v_add_nc_u64_e32 v[102:103], v[66:67], v[68:69]
	v_add_nc_u64_e32 v[68:69], v[68:69], v[38:39]
	v_cmp_gt_i32_e64 s10, 16, v70
	global_load_b128 v[98:101], v[98:99], off th:TH_LOAD_NT
	s_or_b32 s21, s10, s21
	s_wait_loadcnt 0x0
	global_store_b128 v[102:103], v[98:101], off th:TH_STORE_NT
	s_wait_xcnt 0x0
	s_and_not1_b32 exec_lo, exec_lo, s21
	s_cbranch_execnz .LBB4_482
; %bb.483:                              ;   in Loop: Header=BB4_403 Depth=1
	s_or_b32 exec_lo, exec_lo, s21
.LBB4_484:                              ;   in Loop: Header=BB4_403 Depth=1
	s_delay_alu instid0(SALU_CYCLE_1) | instskip(SKIP_3) | instid1(VALU_DEP_1)
	s_or_b32 exec_lo, exec_lo, s20
	v_dual_mov_b32 v70, 0 :: v_dual_bitop2_b32 v69, 8, v84 bitop3:0x40
	s_mov_b32 s20, 0
	s_mov_b32 s21, exec_lo
                                        ; implicit-def: $vgpr71
                                        ; implicit-def: $vgpr68
	v_cndmask_b32_e32 v84, v96, v69, vcc_lo
	s_delay_alu instid0(VALU_DEP_1)
	v_cmpx_ne_u32_e32 0, v84
	s_cbranch_execz .LBB4_486
; %bb.485:                              ;   in Loop: Header=BB4_403 Depth=1
	v_cmp_lt_i32_e64 s10, 0, v97
	s_mov_b32 s20, exec_lo
	v_dual_sub_nc_u32 v69, v96, v69 :: v_dual_cndmask_b32 v68, 0, v28, s10
	s_delay_alu instid0(VALU_DEP_1) | instskip(NEXT) | instid1(VALU_DEP_2)
	v_cndmask_b32_e32 v69, 0, v69, vcc_lo
	v_sub_nc_u32_e32 v68, v68, v97
	s_delay_alu instid0(VALU_DEP_2) | instskip(NEXT) | instid1(VALU_DEP_2)
	v_add3_u32 v70, v86, v85, v69
	v_lshl_add_u32 v71, v68, 5, v87
	s_delay_alu instid0(VALU_DEP_1) | instskip(NEXT) | instid1(VALU_DEP_1)
	v_ashrrev_i32_e32 v68, 31, v71
	v_lshrrev_b32_e32 v68, 27, v68
	s_delay_alu instid0(VALU_DEP_1) | instskip(NEXT) | instid1(VALU_DEP_1)
	v_add_nc_u32_e32 v68, v71, v68
	v_ashrrev_i32_e32 v68, 5, v68
.LBB4_486:                              ;   in Loop: Header=BB4_403 Depth=1
	s_or_b32 exec_lo, exec_lo, s21
	s_delay_alu instid0(SALU_CYCLE_1)
	s_and_b32 s20, s20, exec_lo
.LBB4_487:                              ;   in Loop: Header=BB4_403 Depth=1
	s_or_b32 exec_lo, exec_lo, s19
	s_and_saveexec_b32 s10, s20
	s_cbranch_execz .LBB4_496
.LBB4_488:                              ;   in Loop: Header=BB4_403 Depth=1
	v_ashrrev_i32_e32 v69, 31, v84
	s_mov_b32 s19, exec_lo
	s_delay_alu instid0(VALU_DEP_1) | instskip(NEXT) | instid1(VALU_DEP_1)
	v_lshrrev_b32_e32 v69, 23, v69
	v_add_nc_u32_e32 v69, v84, v69
	s_delay_alu instid0(VALU_DEP_1) | instskip(NEXT) | instid1(VALU_DEP_1)
	v_dual_ashrrev_i32 v87, 9, v69 :: v_dual_ashrrev_i32 v69, 31, v71
	v_dual_sub_nc_u32 v85, v87, v68 :: v_dual_lshrrev_b32 v86, 27, v69
	s_delay_alu instid0(VALU_DEP_1)
	v_cmpx_lt_i32_e32 0, v85
	s_cbranch_execz .LBB4_492
; %bb.489:                              ;   in Loop: Header=BB4_403 Depth=1
	s_delay_alu instid0(VALU_DEP_2) | instskip(SKIP_1) | instid1(VALU_DEP_1)
	v_dual_add_nc_u32 v69, v71, v86 :: v_dual_lshlrev_b32 v68, 9, v68
	s_mov_b32 s20, 0
	v_and_b32_e32 v69, 0x1fffffe0, v69
	s_delay_alu instid0(VALU_DEP_1) | instskip(NEXT) | instid1(VALU_DEP_1)
	v_sub_nc_u32_e32 v69, v71, v69
	v_lshlrev_b32_e32 v69, 3, v69
	s_delay_alu instid0(VALU_DEP_1) | instskip(NEXT) | instid1(VALU_DEP_1)
	v_add3_u32 v68, v69, v70, v68
	v_ashrrev_i32_e32 v69, 31, v68
.LBB4_490:                              ;   Parent Loop BB4_403 Depth=1
                                        ; =>  This Inner Loop Header: Depth=2
	s_delay_alu instid0(VALU_DEP_1)
	v_add_nc_u64_e32 v[96:97], v[64:65], v[68:69]
	v_sub_nc_u32_e32 v85, v85, v28
	v_add_nc_u64_e32 v[100:101], v[66:67], v[68:69]
	v_add_nc_u64_e32 v[68:69], v[68:69], v[38:39]
	s_clause 0x1
	flat_load_b64 v[98:99], v[96:97] th:TH_LOAD_NT
	flat_load_b64 v[96:97], v[96:97] offset:256 th:TH_LOAD_NT
	v_cmp_gt_i32_e32 vcc_lo, 1, v85
	s_wait_loadcnt_dscnt 0x101
	flat_store_b64 v[100:101], v[98:99] th:TH_STORE_NT
	s_wait_loadcnt_dscnt 0x1
	flat_store_b64 v[100:101], v[96:97] offset:256 th:TH_STORE_NT
	s_or_b32 s20, vcc_lo, s20
	s_wait_xcnt 0x0
	s_and_not1_b32 exec_lo, exec_lo, s20
	s_cbranch_execnz .LBB4_490
; %bb.491:                              ;   in Loop: Header=BB4_403 Depth=1
	s_or_b32 exec_lo, exec_lo, s20
.LBB4_492:                              ;   in Loop: Header=BB4_403 Depth=1
	s_delay_alu instid0(SALU_CYCLE_1) | instskip(SKIP_1) | instid1(VALU_DEP_1)
	s_or_b32 exec_lo, exec_lo, s19
	v_lshlrev_b32_e32 v68, 9, v87
	v_cmp_ne_u32_e32 vcc_lo, v84, v68
	s_and_b32 exec_lo, exec_lo, vcc_lo
	s_cbranch_execz .LBB4_496
; %bb.493:                              ;   in Loop: Header=BB4_403 Depth=1
	v_add_nc_u32_e32 v69, v71, v86
	s_delay_alu instid0(VALU_DEP_1) | instskip(NEXT) | instid1(VALU_DEP_1)
	v_and_b32_e32 v69, 0xffffffe0, v69
	v_sub_nc_u32_e32 v69, v71, v69
	v_lshlrev_b32_e32 v71, 5, v85
	s_delay_alu instid0(VALU_DEP_1) | instskip(NEXT) | instid1(VALU_DEP_1)
	v_sub_nc_u32_e32 v69, v69, v71
	v_ashrrev_i32_e32 v71, 31, v69
	s_delay_alu instid0(VALU_DEP_1) | instskip(NEXT) | instid1(VALU_DEP_1)
	v_lshrrev_b32_e32 v71, 27, v71
	v_add_nc_u32_e32 v71, v69, v71
	s_delay_alu instid0(VALU_DEP_1) | instskip(NEXT) | instid1(VALU_DEP_1)
	v_and_b32_e32 v85, 0x1fffffe0, v71
	v_dual_lshlrev_b32 v71, 3, v71 :: v_dual_sub_nc_u32 v69, v69, v85
	s_delay_alu instid0(VALU_DEP_1) | instskip(NEXT) | instid1(VALU_DEP_2)
	v_and_b32_e32 v71, 0xffffff00, v71
	v_lshlrev_b32_e32 v69, 3, v69
	s_delay_alu instid0(VALU_DEP_1) | instskip(NEXT) | instid1(VALU_DEP_1)
	v_add3_u32 v68, v71, v69, v68
	v_sub_nc_u32_e32 v71, v84, v68
	s_delay_alu instid0(VALU_DEP_1)
	v_cmp_lt_i32_e32 vcc_lo, 7, v71
	s_and_b32 exec_lo, exec_lo, vcc_lo
	s_cbranch_execz .LBB4_496
; %bb.494:                              ;   in Loop: Header=BB4_403 Depth=1
	v_add_nc_u32_e32 v68, v68, v70
	s_mov_b32 s19, 0
	s_delay_alu instid0(VALU_DEP_1)
	v_ashrrev_i32_e32 v69, 31, v68
.LBB4_495:                              ;   Parent Loop BB4_403 Depth=1
                                        ; =>  This Inner Loop Header: Depth=2
	s_delay_alu instid0(VALU_DEP_1) | instskip(SKIP_3) | instid1(VALU_DEP_3)
	v_add_nc_u64_e32 v[84:85], v[64:65], v[68:69]
	v_sub_nc_u32_e32 v71, v71, v50
	v_add_nc_u64_e32 v[86:87], v[66:67], v[68:69]
	v_add_nc_u64_e32 v[68:69], v[68:69], v[50:51]
	v_cmp_gt_i32_e32 vcc_lo, 8, v71
	flat_load_b64 v[84:85], v[84:85] th:TH_LOAD_NT
	s_or_b32 s19, vcc_lo, s19
	s_wait_loadcnt_dscnt 0x0
	flat_store_b64 v[86:87], v[84:85] th:TH_STORE_NT
	s_wait_xcnt 0x0
	s_and_not1_b32 exec_lo, exec_lo, s19
	s_cbranch_execnz .LBB4_495
.LBB4_496:                              ;   in Loop: Header=BB4_403 Depth=1
	s_or_b32 exec_lo, exec_lo, s10
	v_cmp_ne_u32_e64 s10, 0, v32
	s_and_saveexec_b32 s19, s2
	s_cbranch_execz .LBB4_515
.LBB4_497:                              ;   in Loop: Header=BB4_403 Depth=1
	s_and_saveexec_b32 s20, s3
	s_delay_alu instid0(SALU_CYCLE_1)
	s_xor_b32 s20, exec_lo, s20
	s_cbranch_execz .LBB4_512
; %bb.498:                              ;   in Loop: Header=BB4_403 Depth=1
	s_and_saveexec_b32 s21, s5
	s_cbranch_execz .LBB4_511
; %bb.499:                              ;   in Loop: Header=BB4_403 Depth=1
	s_mov_b32 s23, exec_lo
	s_mov_b32 s22, exec_lo
	v_mbcnt_lo_u32_b32 v32, s23, 0
	global_wb scope:SCOPE_DEV
	s_wait_storecnt 0x0
	s_wait_loadcnt_dscnt 0x0
	global_inv scope:SCOPE_DEV
	v_cmpx_eq_u32_e32 0, v32
	s_cbranch_execz .LBB4_501
; %bb.500:                              ;   in Loop: Header=BB4_403 Depth=1
	s_bcnt1_i32_b32 s23, s23
	s_delay_alu instid0(SALU_CYCLE_1)
	v_mov_b32_e32 v32, s23
	s_wait_loadcnt 0x0
	ds_add_u64 v0, v[32:33]
	s_trap 2
.LBB4_501:                              ;   in Loop: Header=BB4_403 Depth=1
	s_or_b32 exec_lo, exec_lo, s22
	s_trap 2
	ds_load_b64 v[64:65], v0
	s_wait_dscnt 0x0
	v_add_nc_u64_e32 v[10:11], v[10:11], v[28:29]
	s_mov_b32 s22, exec_lo
	s_delay_alu instid0(VALU_DEP_1)
	v_cmpx_lt_u64_e64 v[64:65], v[10:11]
	s_cbranch_execz .LBB4_510
; %bb.502:                              ;   in Loop: Header=BB4_403 Depth=1
	s_mov_b32 s23, 0
	s_mov_b32 s26, 0
                                        ; implicit-def: $sgpr24
                                        ; implicit-def: $sgpr25
	s_branch .LBB4_504
.LBB4_503:                              ;   in Loop: Header=BB4_504 Depth=2
	s_or_b32 exec_lo, exec_lo, s28
	s_delay_alu instid0(SALU_CYCLE_1) | instskip(NEXT) | instid1(SALU_CYCLE_1)
	s_and_b32 s27, exec_lo, s29
	s_or_b32 s23, s27, s23
	s_and_not1_b32 s24, s24, exec_lo
	s_and_b32 s27, s25, exec_lo
	s_delay_alu instid0(SALU_CYCLE_1)
	s_or_b32 s24, s24, s27
	s_and_not1_b32 exec_lo, exec_lo, s23
	s_cbranch_execz .LBB4_508
.LBB4_504:                              ;   Parent Loop BB4_403 Depth=1
                                        ; =>  This Inner Loop Header: Depth=2
	s_add_co_i32 s26, s26, 1
	s_delay_alu instid0(SALU_CYCLE_1) | instskip(SKIP_1) | instid1(SALU_CYCLE_1)
	s_cmp_lg_u32 s26, 0x2710
	s_cselect_b32 s27, -1, 0
	s_and_b32 vcc_lo, exec_lo, s27
	s_cbranch_vccz .LBB4_506
; %bb.505:                              ;   in Loop: Header=BB4_504 Depth=2
	s_mov_b32 s29, -1
	s_or_b32 s25, s25, exec_lo
	s_and_saveexec_b32 s28, s27
	s_cbranch_execz .LBB4_503
	s_branch .LBB4_507
.LBB4_506:                              ;   in Loop: Header=BB4_504 Depth=2
	s_trap 2
	ds_load_b64 v[64:65], v0
	s_and_not1_b32 s27, s27, exec_lo
	s_mov_b32 s26, 0
	s_wait_loadcnt_dscnt 0x0
	flat_load_b32 v32, v[64:65] scope:SCOPE_SYS
	s_wait_loadcnt_dscnt 0x0
	global_inv scope:SCOPE_SYS
	v_cmp_eq_u32_e32 vcc_lo, 0, v32
	s_and_b32 s28, vcc_lo, exec_lo
	s_delay_alu instid0(SALU_CYCLE_1)
	s_or_b32 s27, s27, s28
	s_mov_b32 s29, -1
	s_or_b32 s25, s25, exec_lo
	s_and_saveexec_b32 s28, s27
	s_cbranch_execz .LBB4_503
.LBB4_507:                              ;   in Loop: Header=BB4_504 Depth=2
	s_sleep 1
	s_trap 2
	ds_load_b64 v[64:65], v0
	s_wait_dscnt 0x0
	s_and_not1_b32 s25, s25, exec_lo
	v_cmp_ge_u64_e32 vcc_lo, v[64:65], v[10:11]
	s_or_not1_b32 s29, vcc_lo, exec_lo
	s_branch .LBB4_503
.LBB4_508:                              ;   in Loop: Header=BB4_403 Depth=1
	s_or_b32 exec_lo, exec_lo, s23
	s_and_saveexec_b32 s23, s24
	s_delay_alu instid0(SALU_CYCLE_1)
	s_xor_b32 s23, exec_lo, s23
	s_cbranch_execz .LBB4_510
; %bb.509:                              ;   in Loop: Header=BB4_403 Depth=1
	ds_store_b32 v0, v83
	s_trap 2
.LBB4_510:                              ;   in Loop: Header=BB4_403 Depth=1
	s_or_b32 exec_lo, exec_lo, s22
	;;#ASMSTART
	s_wakeup
	;;#ASMEND
.LBB4_511:                              ;   in Loop: Header=BB4_403 Depth=1
	s_or_b32 exec_lo, exec_lo, s21
.LBB4_512:                              ;   in Loop: Header=BB4_403 Depth=1
	s_and_not1_saveexec_b32 s20, s20
	s_cbranch_execz .LBB4_514
; %bb.513:                              ;   in Loop: Header=BB4_403 Depth=1
	global_wb scope:SCOPE_DEV
	s_wait_storecnt 0x0
	s_wait_loadcnt_dscnt 0x0
	global_inv scope:SCOPE_DEV
	s_barrier_signal -1
	s_barrier_wait -1
.LBB4_514:                              ;   in Loop: Header=BB4_403 Depth=1
	s_or_b32 exec_lo, exec_lo, s20
.LBB4_515:                              ;   in Loop: Header=BB4_403 Depth=1
	s_delay_alu instid0(SALU_CYCLE_1) | instskip(SKIP_1) | instid1(VALU_DEP_1)
	s_or_b32 exec_lo, exec_lo, s19
	v_and_b32_e32 v32, 16, v30
	v_cmp_ne_u32_e32 vcc_lo, 0, v32
	s_and_b32 s19, vcc_lo, s10
	s_delay_alu instid0(SALU_CYCLE_1)
	s_and_saveexec_b32 s10, s19
	s_cbranch_execz .LBB4_517
; %bb.516:                              ;   in Loop: Header=BB4_403 Depth=1
	global_wb scope:SCOPE_SYS
	s_wait_storecnt 0x0
	s_wait_loadcnt_dscnt 0x0
	global_inv scope:SCOPE_SYS
.LBB4_517:                              ;   in Loop: Header=BB4_403 Depth=1
	s_or_b32 exec_lo, exec_lo, s10
	s_delay_alu instid0(SALU_CYCLE_1)
	s_mov_b32 s10, exec_lo
	v_cmpx_ne_u32_e32 0, v32
	s_cbranch_execz .LBB4_521
; %bb.518:                              ;   in Loop: Header=BB4_403 Depth=1
	s_and_saveexec_b32 s19, s4
	s_cbranch_execz .LBB4_520
; %bb.519:                              ;   in Loop: Header=BB4_403 Depth=1
	global_wb scope:SCOPE_SYS
	s_wait_storecnt 0x0
	s_wait_loadcnt_dscnt 0x0
	flat_store_b32 v[26:27], v83 scope:SCOPE_SYS
.LBB4_520:                              ;   in Loop: Header=BB4_403 Depth=1
	s_wait_xcnt 0x0
	s_or_b32 exec_lo, exec_lo, s19
	v_add_nc_u64_e32 v[8:9], 1, v[8:9]
	global_wb scope:SCOPE_SYS
	s_wait_storecnt 0x0
	s_wait_loadcnt_dscnt 0x0
	flat_store_b64 v[18:19], v[8:9] scope:SCOPE_SYS
.LBB4_521:                              ;   in Loop: Header=BB4_403 Depth=1
	s_wait_xcnt 0x0
	s_or_b32 exec_lo, exec_lo, s10
	v_mov_b32_e32 v32, v55
.LBB4_522:                              ;   in Loop: Header=BB4_403 Depth=1
	s_or_b32 exec_lo, exec_lo, s18
	s_and_saveexec_b32 s18, s17
	s_cbranch_execz .LBB4_402
; %bb.523:                              ;   in Loop: Header=BB4_403 Depth=1
	s_delay_alu instid0(VALU_DEP_1) | instskip(SKIP_1) | instid1(VALU_DEP_1)
	v_dual_sub_nc_u32 v32, v54, v32 :: v_dual_bitop2_b32 v64, 8, v30 bitop3:0x40
	s_mov_b32 s17, exec_lo
	v_min_i32_e32 v54, v55, v32
	s_delay_alu instid0(VALU_DEP_2)
	v_cmpx_ne_u32_e32 0, v64
	s_cbranch_execz .LBB4_545
; %bb.524:                              ;   in Loop: Header=BB4_403 Depth=1
	s_wait_loadcnt 0x0
	v_add_nc_u64_e32 v[66:67], 8, v[24:25]
	v_add_nc_u64_e32 v[64:65], 1, v[8:9]
	s_mov_b32 s19, exec_lo
	s_delay_alu instid0(VALU_DEP_1)
	v_cmpx_lt_u64_e64 v[66:67], v[64:65]
	s_cbranch_execz .LBB4_536
; %bb.525:                              ;   in Loop: Header=BB4_403 Depth=1
	v_and_b32_e32 v9, 64, v30
	s_mov_b32 s20, 0
	s_mov_b32 s24, 0
                                        ; implicit-def: $sgpr21
                                        ; implicit-def: $sgpr22
                                        ; implicit-def: $sgpr23
	s_delay_alu instid0(VALU_DEP_1)
	v_cmp_eq_u32_e32 vcc_lo, 0, v9
	s_branch .LBB4_529
.LBB4_526:                              ;   in Loop: Header=BB4_529 Depth=2
	s_wait_loadcnt_dscnt 0x0
	v_add_nc_u64_e32 v[66:67], 8, v[24:25]
	s_or_b32 s27, s27, exec_lo
	s_delay_alu instid0(VALU_DEP_1)
	v_cmp_ge_u64_e64 s10, v[66:67], v[64:65]
	s_or_not1_b32 s26, s10, exec_lo
.LBB4_527:                              ;   in Loop: Header=BB4_529 Depth=2
	s_or_b32 exec_lo, exec_lo, s29
	s_delay_alu instid0(SALU_CYCLE_1)
	s_and_not1_b32 s10, s23, exec_lo
	s_and_b32 s23, s27, exec_lo
	s_and_not1_b32 s22, s22, exec_lo
	s_and_b32 s26, s26, exec_lo
	s_or_b32 s23, s10, s23
	s_or_b32 s22, s22, s26
.LBB4_528:                              ;   in Loop: Header=BB4_529 Depth=2
	s_or_b32 exec_lo, exec_lo, s25
	s_delay_alu instid0(SALU_CYCLE_1) | instskip(NEXT) | instid1(SALU_CYCLE_1)
	s_and_b32 s10, exec_lo, s22
	s_or_b32 s20, s10, s20
	s_and_not1_b32 s10, s21, exec_lo
	s_and_b32 s21, s23, exec_lo
	s_delay_alu instid0(SALU_CYCLE_1)
	s_or_b32 s21, s10, s21
	s_and_not1_b32 exec_lo, exec_lo, s20
	s_cbranch_execz .LBB4_533
.LBB4_529:                              ;   Parent Loop BB4_403 Depth=1
                                        ; =>  This Inner Loop Header: Depth=2
	s_sleep 1
	s_wait_loadcnt_dscnt 0x0
	flat_load_b64 v[24:25], v[18:19] scope:SCOPE_SYS
	s_or_b32 s23, s23, exec_lo
	s_or_b32 s22, s22, exec_lo
                                        ; implicit-def: $vgpr9
	s_wait_xcnt 0x0
	s_and_saveexec_b32 s25, vcc_lo
	s_cbranch_execz .LBB4_528
; %bb.530:                              ;   in Loop: Header=BB4_529 Depth=2
	s_cmp_lt_i32 s24, 0x270f
	s_mov_b32 s26, -1
	s_cselect_b32 s28, -1, 0
	s_cmp_gt_i32 s24, 0x270e
	s_cbranch_scc0 .LBB4_532
; %bb.531:                              ;   in Loop: Header=BB4_529 Depth=2
	s_trap 2
	ds_load_b64 v[66:67], v0
	s_and_not1_b32 s24, s28, exec_lo
	s_mov_b32 s27, 0
	s_wait_storecnt 0x0
	s_wait_loadcnt_dscnt 0x0
	flat_load_b32 v9, v[66:67] scope:SCOPE_SYS
	s_wait_loadcnt_dscnt 0x0
	global_inv scope:SCOPE_SYS
	v_cmp_eq_u32_e64 s10, 0, v9
	s_and_b32 s10, s10, exec_lo
	s_delay_alu instid0(SALU_CYCLE_1)
	s_or_b32 s28, s24, s10
	s_mov_b32 s24, 0
	s_and_saveexec_b32 s29, s28
	s_cbranch_execz .LBB4_527
	s_branch .LBB4_526
.LBB4_532:                              ;   in Loop: Header=BB4_529 Depth=2
	s_add_co_i32 s24, s24, 1
	s_mov_b32 s27, -1
                                        ; implicit-def: $vgpr9
	s_and_saveexec_b32 s29, s28
	s_cbranch_execz .LBB4_527
	s_branch .LBB4_526
.LBB4_533:                              ;   in Loop: Header=BB4_403 Depth=1
	s_or_b32 exec_lo, exec_lo, s20
	s_xor_b32 s10, s21, -1
	s_delay_alu instid0(SALU_CYCLE_1) | instskip(NEXT) | instid1(SALU_CYCLE_1)
	s_and_saveexec_b32 s20, s10
	s_xor_b32 s10, exec_lo, s20
	s_cbranch_execz .LBB4_535
; %bb.534:                              ;   in Loop: Header=BB4_403 Depth=1
	v_or_b32_e32 v30, 64, v30
	s_wait_storecnt 0x0
	s_wait_loadcnt_dscnt 0x0
	ds_store_b32 v0, v9
	s_trap 2
.LBB4_535:                              ;   in Loop: Header=BB4_403 Depth=1
	s_or_b32 exec_lo, exec_lo, s10
.LBB4_536:                              ;   in Loop: Header=BB4_403 Depth=1
	s_delay_alu instid0(SALU_CYCLE_1) | instskip(SKIP_4) | instid1(VALU_DEP_2)
	s_or_b32 exec_lo, exec_lo, s19
	v_and_b32_e32 v9, 0x100, v30
	v_and_b32_e32 v32, 7, v8
	s_mov_b32 s19, 0
	;;#ASMSTART
	s_wakeup
	;;#ASMEND
	v_cmp_ne_u32_e32 vcc_lo, 0, v9
                                        ; implicit-def: $vgpr8_vgpr9
	s_and_saveexec_b32 s10, vcc_lo
	s_delay_alu instid0(SALU_CYCLE_1)
	s_xor_b32 s10, exec_lo, s10
	s_cbranch_execz .LBB4_557
; %bb.537:                              ;   in Loop: Header=BB4_403 Depth=1
	v_mad_nc_u64_u32 v[66:67], v32, 24, v[6:7]
	v_ashrrev_i32_e32 v55, 31, v54
	s_mov_b32 s19, -1
	s_mov_b32 s20, exec_lo
	s_delay_alu instid0(VALU_DEP_1)
	v_lshlrev_b64_e32 v[8:9], 3, v[54:55]
	s_clause 0x1
	flat_load_b32 v68, v[66:67]
	flat_store_b64 v[66:67], v[8:9] offset:8
                                        ; implicit-def: $vgpr8_vgpr9
	s_wait_loadcnt_dscnt 0x1
	v_cmpx_eq_u32_e32 1, v68
	s_cbranch_execz .LBB4_539
; %bb.538:                              ;   in Loop: Header=BB4_403 Depth=1
	flat_load_b32 v8, v[66:67] offset:4 scope:SCOPE_SYS
	s_xor_b32 s19, exec_lo, -1
	s_wait_loadcnt_dscnt 0x0
	v_ashrrev_i32_e32 v9, 31, v8
	s_delay_alu instid0(VALU_DEP_1)
	v_lshrrev_b64 v[8:9], 3, v[8:9]
.LBB4_539:                              ;   in Loop: Header=BB4_403 Depth=1
	s_wait_xcnt 0x0
	s_or_b32 exec_lo, exec_lo, s20
	s_delay_alu instid0(SALU_CYCLE_1)
	s_and_b32 s19, s19, exec_lo
	s_and_not1_saveexec_b32 s10, s10
	s_cbranch_execnz .LBB4_558
.LBB4_540:                              ;   in Loop: Header=BB4_403 Depth=1
	s_or_b32 exec_lo, exec_lo, s10
	s_and_saveexec_b32 s10, s19
.LBB4_541:                              ;   in Loop: Header=BB4_403 Depth=1
	v_mul_u64_e32 v[8:9], v[32:33], v[20:21]
.LBB4_542:                              ;   in Loop: Header=BB4_403 Depth=1
	s_or_b32 exec_lo, exec_lo, s10
	v_and_b32_e32 v32, 0x2000, v30
	s_delay_alu instid0(VALU_DEP_2)
	v_lshl_add_u64 v[8:9], v[8:9], 3, v[22:23]
	s_mov_b32 s10, exec_lo
	ds_store_b64 v0, v[8:9] offset:784
	v_cmpx_ne_u32_e32 0, v32
	s_cbranch_execz .LBB4_544
; %bb.543:                              ;   in Loop: Header=BB4_403 Depth=1
	ds_load_b64 v[8:9], v0 offset:872
	s_wait_dscnt 0x0
	v_add_nc_u64_e32 v[8:9], 1, v[8:9]
	ds_store_b64 v0, v[8:9] offset:872
.LBB4_544:                              ;   in Loop: Header=BB4_403 Depth=1
	s_or_b32 exec_lo, exec_lo, s10
	v_mov_b64_e32 v[8:9], v[64:65]
.LBB4_545:                              ;   in Loop: Header=BB4_403 Depth=1
	s_or_b32 exec_lo, exec_lo, s17
	s_and_saveexec_b32 s10, s2
	s_cbranch_execz .LBB4_566
; %bb.546:                              ;   in Loop: Header=BB4_403 Depth=1
	s_and_saveexec_b32 s17, s3
	s_delay_alu instid0(SALU_CYCLE_1)
	s_xor_b32 s17, exec_lo, s17
	s_cbranch_execz .LBB4_563
; %bb.547:                              ;   in Loop: Header=BB4_403 Depth=1
	s_and_saveexec_b32 s19, s5
	s_cbranch_execz .LBB4_562
; %bb.548:                              ;   in Loop: Header=BB4_403 Depth=1
	s_mov_b32 s21, exec_lo
	s_mov_b32 s20, exec_lo
	v_mbcnt_lo_u32_b32 v32, s21, 0
	global_wb scope:SCOPE_DEV
	s_wait_storecnt 0x0
	s_wait_loadcnt_dscnt 0x0
	global_inv scope:SCOPE_DEV
	v_cmpx_eq_u32_e32 0, v32
	s_cbranch_execz .LBB4_550
; %bb.549:                              ;   in Loop: Header=BB4_403 Depth=1
	s_bcnt1_i32_b32 s21, s21
	s_delay_alu instid0(SALU_CYCLE_1)
	v_mov_b32_e32 v32, s21
	s_wait_loadcnt 0x0
	ds_add_u64 v0, v[32:33]
	s_trap 2
.LBB4_550:                              ;   in Loop: Header=BB4_403 Depth=1
	s_or_b32 exec_lo, exec_lo, s20
	s_trap 2
	ds_load_b64 v[64:65], v0
	s_wait_dscnt 0x0
	v_add_nc_u64_e32 v[10:11], v[10:11], v[28:29]
	s_mov_b32 s20, exec_lo
	s_delay_alu instid0(VALU_DEP_1)
	v_cmpx_lt_u64_e64 v[64:65], v[10:11]
	s_cbranch_execz .LBB4_561
; %bb.551:                              ;   in Loop: Header=BB4_403 Depth=1
	s_mov_b32 s21, 0
	s_mov_b32 s24, 0
                                        ; implicit-def: $sgpr22
                                        ; implicit-def: $sgpr23
	s_branch .LBB4_553
.LBB4_552:                              ;   in Loop: Header=BB4_553 Depth=2
	s_or_b32 exec_lo, exec_lo, s26
	s_delay_alu instid0(SALU_CYCLE_1) | instskip(NEXT) | instid1(SALU_CYCLE_1)
	s_and_b32 s25, exec_lo, s27
	s_or_b32 s21, s25, s21
	s_and_not1_b32 s22, s22, exec_lo
	s_and_b32 s25, s23, exec_lo
	s_delay_alu instid0(SALU_CYCLE_1)
	s_or_b32 s22, s22, s25
	s_and_not1_b32 exec_lo, exec_lo, s21
	s_cbranch_execz .LBB4_559
.LBB4_553:                              ;   Parent Loop BB4_403 Depth=1
                                        ; =>  This Inner Loop Header: Depth=2
	s_add_co_i32 s24, s24, 1
	s_delay_alu instid0(SALU_CYCLE_1) | instskip(SKIP_1) | instid1(SALU_CYCLE_1)
	s_cmp_lg_u32 s24, 0x2710
	s_cselect_b32 s25, -1, 0
	s_and_b32 vcc_lo, exec_lo, s25
	s_cbranch_vccz .LBB4_555
; %bb.554:                              ;   in Loop: Header=BB4_553 Depth=2
	s_mov_b32 s27, -1
	s_or_b32 s23, s23, exec_lo
	s_and_saveexec_b32 s26, s25
	s_cbranch_execz .LBB4_552
	s_branch .LBB4_556
.LBB4_555:                              ;   in Loop: Header=BB4_553 Depth=2
	s_trap 2
	ds_load_b64 v[64:65], v0
	s_and_not1_b32 s25, s25, exec_lo
	s_mov_b32 s24, 0
	s_wait_loadcnt_dscnt 0x0
	flat_load_b32 v32, v[64:65] scope:SCOPE_SYS
	s_wait_loadcnt_dscnt 0x0
	global_inv scope:SCOPE_SYS
	v_cmp_eq_u32_e32 vcc_lo, 0, v32
	s_and_b32 s26, vcc_lo, exec_lo
	s_delay_alu instid0(SALU_CYCLE_1)
	s_or_b32 s25, s25, s26
	s_mov_b32 s27, -1
	s_or_b32 s23, s23, exec_lo
	s_and_saveexec_b32 s26, s25
	s_cbranch_execz .LBB4_552
.LBB4_556:                              ;   in Loop: Header=BB4_553 Depth=2
	s_sleep 1
	s_trap 2
	ds_load_b64 v[64:65], v0
	s_wait_dscnt 0x0
	s_and_not1_b32 s23, s23, exec_lo
	v_cmp_ge_u64_e32 vcc_lo, v[64:65], v[10:11]
	s_or_not1_b32 s27, vcc_lo, exec_lo
	s_branch .LBB4_552
.LBB4_557:                              ;   in Loop: Header=BB4_403 Depth=1
	s_and_not1_saveexec_b32 s10, s10
	s_cbranch_execz .LBB4_540
.LBB4_558:                              ;   in Loop: Header=BB4_403 Depth=1
	s_or_b32 s19, s19, exec_lo
	s_or_b32 exec_lo, exec_lo, s10
	s_and_saveexec_b32 s10, s19
	s_cbranch_execnz .LBB4_541
	s_branch .LBB4_542
.LBB4_559:                              ;   in Loop: Header=BB4_403 Depth=1
	s_or_b32 exec_lo, exec_lo, s21
	s_and_saveexec_b32 s21, s22
	s_delay_alu instid0(SALU_CYCLE_1)
	s_xor_b32 s21, exec_lo, s21
	s_cbranch_execz .LBB4_561
; %bb.560:                              ;   in Loop: Header=BB4_403 Depth=1
	ds_store_b32 v0, v83
	s_trap 2
.LBB4_561:                              ;   in Loop: Header=BB4_403 Depth=1
	s_or_b32 exec_lo, exec_lo, s20
	;;#ASMSTART
	s_wakeup
	;;#ASMEND
.LBB4_562:                              ;   in Loop: Header=BB4_403 Depth=1
	s_or_b32 exec_lo, exec_lo, s19
.LBB4_563:                              ;   in Loop: Header=BB4_403 Depth=1
	s_and_not1_saveexec_b32 s17, s17
	s_cbranch_execz .LBB4_565
; %bb.564:                              ;   in Loop: Header=BB4_403 Depth=1
	global_wb scope:SCOPE_DEV
	s_wait_storecnt 0x0
	s_wait_loadcnt_dscnt 0x0
	global_inv scope:SCOPE_DEV
	s_barrier_signal -1
	s_barrier_wait -1
.LBB4_565:                              ;   in Loop: Header=BB4_403 Depth=1
	s_or_b32 exec_lo, exec_lo, s17
.LBB4_566:                              ;   in Loop: Header=BB4_403 Depth=1
	s_delay_alu instid0(SALU_CYCLE_1)
	s_or_b32 exec_lo, exec_lo, s10
	s_trap 2
	ds_load_b32 v32, v0
	v_cmp_lt_i32_e32 vcc_lo, 0, v54
	s_wait_dscnt 0x0
	v_readfirstlane_b32 s10, v32
	v_and_b32_e32 v32, 16, v30
	s_cmp_eq_u32 s10, 0
	s_delay_alu instid0(VALU_DEP_1) | instskip(SKIP_1) | instid1(SALU_CYCLE_1)
	v_cmp_ne_u32_e64 s10, 0, v32
	s_cselect_b32 s17, -1, 0
	s_and_b32 s17, vcc_lo, s17
	s_delay_alu instid0(SALU_CYCLE_1) | instskip(NEXT) | instid1(SALU_CYCLE_1)
	s_and_b32 s17, s10, s17
	s_and_saveexec_b32 s10, s17
	s_cbranch_execz .LBB4_568
; %bb.567:                              ;   in Loop: Header=BB4_403 Depth=1
	global_wb scope:SCOPE_SYS
	s_wait_loadcnt 0x0
	s_wait_storecnt 0x0
	global_inv scope:SCOPE_SYS
.LBB4_568:                              ;   in Loop: Header=BB4_403 Depth=1
	s_or_b32 exec_lo, exec_lo, s10
	s_delay_alu instid0(SALU_CYCLE_1)
	s_mov_b32 s10, exec_lo
	v_cmpx_ne_u32_e32 0, v32
	s_cbranch_execz .LBB4_401
; %bb.569:                              ;   in Loop: Header=BB4_403 Depth=1
	s_and_saveexec_b32 s17, s4
	s_cbranch_execz .LBB4_400
; %bb.570:                              ;   in Loop: Header=BB4_403 Depth=1
	global_wb scope:SCOPE_SYS
	s_wait_loadcnt 0x0
	s_wait_storecnt 0x0
	flat_store_b32 v[26:27], v83 scope:SCOPE_SYS
	s_branch .LBB4_400
.LBB4_571:
	s_or_b32 exec_lo, exec_lo, s14
.LBB4_572:
	s_delay_alu instid0(SALU_CYCLE_1)
	s_or_b32 exec_lo, exec_lo, s13
.LBB4_573:
	s_delay_alu instid0(SALU_CYCLE_1) | instskip(SKIP_2) | instid1(VALU_DEP_1)
	s_or_b32 exec_lo, exec_lo, s12
	v_and_b32_e32 v0, 0x800, v30
	s_mov_b32 s1, exec_lo
	v_cmpx_eq_u32_e32 0, v0
	s_cbranch_execz .LBB4_606
; %bb.574:
	v_and_b32_e32 v0, 48, v30
	s_mov_b32 s0, exec_lo
	s_delay_alu instid0(VALU_DEP_1)
	v_cmpx_ne_u32_e32 0, v0
	s_cbranch_execz .LBB4_576
; %bb.575:
	s_wait_dscnt 0x0
	flat_store_b64 v[16:17], v[8:9] offset:104
.LBB4_576:
	s_wait_xcnt 0x0
	s_or_b32 exec_lo, exec_lo, s0
	v_and_b32_e32 v0, 0x88, v30
	s_mov_b32 s2, exec_lo
	s_delay_alu instid0(VALU_DEP_1)
	v_cmpx_eq_u32_e32 0x88, v0
	s_cbranch_execz .LBB4_586
; %bb.577:
	s_wait_dscnt 0x0
	v_add_nc_u32_e32 v0, -1, v8
	s_mov_b32 s3, 0
	s_delay_alu instid0(VALU_DEP_1) | instskip(NEXT) | instid1(VALU_DEP_1)
	v_and_b32_e32 v0, 7, v0
	v_mad_nc_u64_u32 v[4:5], v0, 24, v[6:7]
	v_and_b32_e32 v0, 64, v30
	s_delay_alu instid0(VALU_DEP_1)
	v_cmp_eq_u32_e64 s0, 0, v0
	flat_load_b64 v[6:7], v[4:5] offset:8 scope:SCOPE_SYS
	s_wait_loadcnt_dscnt 0x0
	v_cmp_ne_u64_e32 vcc_lo, -1, v[6:7]
	s_and_b32 s0, vcc_lo, s0
	s_wait_xcnt 0x0
	s_and_b32 exec_lo, exec_lo, s0
	s_cbranch_execz .LBB4_586
; %bb.578:
	s_mov_b32 s5, 0
                                        ; implicit-def: $sgpr0
                                        ; implicit-def: $sgpr4
	s_branch .LBB4_581
.LBB4_579:                              ;   in Loop: Header=BB4_581 Depth=1
	flat_load_b64 v[6:7], v[4:5] offset:8 scope:SCOPE_SYS
	s_wait_loadcnt 0x0
	s_and_not1_b32 s4, s4, exec_lo
	s_wait_dscnt 0x0
	v_cmp_eq_u64_e32 vcc_lo, -1, v[6:7]
	s_or_not1_b32 s7, vcc_lo, exec_lo
.LBB4_580:                              ;   in Loop: Header=BB4_581 Depth=1
	s_wait_xcnt 0x0
	s_or_b32 exec_lo, exec_lo, s10
	s_delay_alu instid0(SALU_CYCLE_1) | instskip(NEXT) | instid1(SALU_CYCLE_1)
	s_and_b32 s6, exec_lo, s7
	s_or_b32 s3, s6, s3
	s_and_not1_b32 s0, s0, exec_lo
	s_and_b32 s6, s4, exec_lo
	s_delay_alu instid0(SALU_CYCLE_1)
	s_or_b32 s0, s0, s6
	s_and_not1_b32 exec_lo, exec_lo, s3
	s_cbranch_execz .LBB4_584
.LBB4_581:                              ; =>This Inner Loop Header: Depth=1
	s_cmp_lt_i32 s5, 0x270f
	s_cselect_b32 s6, -1, 0
	s_delay_alu instid0(SALU_CYCLE_1)
	s_and_b32 vcc_lo, exec_lo, s6
	s_cbranch_vccnz .LBB4_583
; %bb.582:                              ;   in Loop: Header=BB4_581 Depth=1
	s_trap 2
	ds_load_b64 v[6:7], v0
	s_and_not1_b32 s6, s6, exec_lo
	s_mov_b32 s5, 0
	s_wait_storecnt_dscnt 0x0
	flat_load_b32 v0, v[6:7] scope:SCOPE_SYS
	s_wait_loadcnt_dscnt 0x0
	global_inv scope:SCOPE_SYS
	v_cmp_eq_u32_e32 vcc_lo, 0, v0
	s_and_b32 s7, vcc_lo, exec_lo
	s_delay_alu instid0(SALU_CYCLE_1)
	s_or_b32 s6, s6, s7
	s_mov_b32 s7, -1
	s_or_b32 s4, s4, exec_lo
	s_wait_xcnt 0x0
	s_and_saveexec_b32 s10, s6
	s_cbranch_execz .LBB4_580
	s_branch .LBB4_579
.LBB4_583:                              ;   in Loop: Header=BB4_581 Depth=1
	s_add_co_i32 s5, s5, 1
                                        ; implicit-def: $vgpr0
	s_mov_b32 s7, -1
	s_or_b32 s4, s4, exec_lo
	s_and_saveexec_b32 s10, s6
	s_cbranch_execz .LBB4_580
	s_branch .LBB4_579
.LBB4_584:
	s_or_b32 exec_lo, exec_lo, s3
	s_and_saveexec_b32 s3, s0
	s_delay_alu instid0(SALU_CYCLE_1)
	s_xor_b32 s3, exec_lo, s3
	s_cbranch_execz .LBB4_586
; %bb.585:
	s_wait_loadcnt 0x0
	s_wait_storecnt 0x0
	ds_store_b32 v0, v0
	s_trap 2
.LBB4_586:
	s_or_b32 exec_lo, exec_lo, s2
	v_and_b32_e32 v0, 0x2000, v30
	s_mov_b32 s0, exec_lo
	s_delay_alu instid0(VALU_DEP_1)
	v_cmpx_ne_u32_e32 0, v0
	s_cbranch_execz .LBB4_588
; %bb.587:
	s_trap 2
	ds_load_b64 v[4:5], v0
	s_wait_dscnt 0x0
	flat_store_b64 v[2:3], v[4:5] offset:16
.LBB4_588:
	s_wait_xcnt 0x0
	s_or_b32 exec_lo, exec_lo, s0
	v_cmp_ne_u32_e32 vcc_lo, 32, v1
	s_and_b32 exec_lo, exec_lo, vcc_lo
	s_cbranch_execz .LBB4_606
; %bb.589:
	s_mov_b32 s0, exec_lo
	v_cmpx_ne_u32_e64 v1, v82
	s_xor_b32 s0, exec_lo, s0
	s_cbranch_execz .LBB4_604
; %bb.590:
	v_and_b32_e32 v0, 31, v31
	s_mov_b32 s2, exec_lo
	s_delay_alu instid0(VALU_DEP_1)
	v_cmpx_eq_u32_e32 0, v0
	s_cbranch_execz .LBB4_603
; %bb.591:
	s_mov_b32 s4, exec_lo
	s_mov_b32 s3, exec_lo
	v_mbcnt_lo_u32_b32 v0, s4, 0
	global_wb scope:SCOPE_DEV
	s_wait_storecnt 0x0
	s_wait_loadcnt_dscnt 0x0
	global_inv scope:SCOPE_DEV
	v_cmpx_eq_u32_e32 0, v0
	s_cbranch_execz .LBB4_593
; %bb.592:
	s_bcnt1_i32_b32 s4, s4
	s_delay_alu instid0(SALU_CYCLE_1)
	v_dual_mov_b32 v3, 0 :: v_dual_mov_b32 v2, s4
	s_wait_loadcnt 0x0
	ds_add_u64 v0, v[2:3]
	s_trap 2
.LBB4_593:
	s_or_b32 exec_lo, exec_lo, s3
	s_trap 2
	ds_load_b64 v[2:3], v0
	s_wait_dscnt 0x0
	v_dual_mov_b32 v1, 0 :: v_dual_lshrrev_b32 v0, 5, v1
	s_mov_b32 s3, exec_lo
	s_delay_alu instid0(VALU_DEP_1) | instskip(NEXT) | instid1(VALU_DEP_1)
	v_add_nc_u64_e32 v[0:1], v[10:11], v[0:1]
	v_cmpx_lt_u64_e64 v[2:3], v[0:1]
	s_cbranch_execz .LBB4_602
; %bb.594:
	s_mov_b32 s4, 0
	s_mov_b32 s7, 0
                                        ; implicit-def: $sgpr5
                                        ; implicit-def: $sgpr6
	s_branch .LBB4_596
.LBB4_595:                              ;   in Loop: Header=BB4_596 Depth=1
	s_or_b32 exec_lo, exec_lo, s12
	s_delay_alu instid0(SALU_CYCLE_1) | instskip(NEXT) | instid1(SALU_CYCLE_1)
	s_and_b32 s10, exec_lo, s13
	s_or_b32 s4, s10, s4
	s_and_not1_b32 s5, s5, exec_lo
	s_and_b32 s10, s6, exec_lo
	s_delay_alu instid0(SALU_CYCLE_1)
	s_or_b32 s5, s5, s10
	s_and_not1_b32 exec_lo, exec_lo, s4
	s_cbranch_execz .LBB4_600
.LBB4_596:                              ; =>This Inner Loop Header: Depth=1
	s_add_co_i32 s7, s7, 1
	s_delay_alu instid0(SALU_CYCLE_1) | instskip(SKIP_1) | instid1(SALU_CYCLE_1)
	s_cmp_lg_u32 s7, 0x2710
	s_cselect_b32 s10, -1, 0
	s_and_b32 vcc_lo, exec_lo, s10
	s_cbranch_vccz .LBB4_598
; %bb.597:                              ;   in Loop: Header=BB4_596 Depth=1
	s_mov_b32 s13, -1
	s_or_b32 s6, s6, exec_lo
	s_and_saveexec_b32 s12, s10
	s_cbranch_execz .LBB4_595
	s_branch .LBB4_599
.LBB4_598:                              ;   in Loop: Header=BB4_596 Depth=1
	s_trap 2
	ds_load_b64 v[2:3], v0
	s_and_not1_b32 s10, s10, exec_lo
	s_mov_b32 s7, 0
	s_wait_loadcnt_dscnt 0x0
	flat_load_b32 v2, v[2:3] scope:SCOPE_SYS
	s_wait_loadcnt_dscnt 0x0
	global_inv scope:SCOPE_SYS
	v_cmp_eq_u32_e32 vcc_lo, 0, v2
	s_and_b32 s12, vcc_lo, exec_lo
	s_delay_alu instid0(SALU_CYCLE_1)
	s_or_b32 s10, s10, s12
	s_mov_b32 s13, -1
	s_or_b32 s6, s6, exec_lo
	s_and_saveexec_b32 s12, s10
	s_cbranch_execz .LBB4_595
.LBB4_599:                              ;   in Loop: Header=BB4_596 Depth=1
	s_sleep 1
	s_trap 2
	ds_load_b64 v[2:3], v0
	s_wait_dscnt 0x0
	s_and_not1_b32 s6, s6, exec_lo
	v_cmp_ge_u64_e32 vcc_lo, v[2:3], v[0:1]
	s_or_not1_b32 s13, vcc_lo, exec_lo
	s_branch .LBB4_595
.LBB4_600:
	s_or_b32 exec_lo, exec_lo, s4
	s_and_saveexec_b32 s4, s5
	s_delay_alu instid0(SALU_CYCLE_1)
	s_xor_b32 s4, exec_lo, s4
	s_cbranch_execz .LBB4_602
; %bb.601:
	v_mov_b32_e32 v0, 1
	ds_store_b32 v0, v0
	s_trap 2
.LBB4_602:
	s_or_b32 exec_lo, exec_lo, s3
	;;#ASMSTART
	s_wakeup
	;;#ASMEND
.LBB4_603:
	s_or_b32 exec_lo, exec_lo, s2
.LBB4_604:
	s_and_not1_saveexec_b32 s0, s0
	s_cbranch_execz .LBB4_606
; %bb.605:
	global_wb scope:SCOPE_DEV
	s_wait_storecnt 0x0
	s_wait_loadcnt_dscnt 0x0
	global_inv scope:SCOPE_DEV
	s_barrier_signal -1
	s_barrier_wait -1
.LBB4_606:
	s_or_b32 exec_lo, exec_lo, s1
.LBB4_607:
	s_and_not1_saveexec_b32 s21, s11
	s_cbranch_execz .LBB4_609
; %bb.608:
	s_get_pc_i64 s[0:1]
	s_add_nc_u64 s[0:1], s[0:1], __PRETTY_FUNCTION__._ZN10PrimitivesIm8FuncProdImE12FanSymmetricILi1EELi0E11ProtoSimpleILi1ELi1ELi0ELi2ELi0ELi0EELi0ELb0ELi0ELi0ELi0EEC2EiiPKiS8_PKvPvmhhhP15ncclDevWorkCollP14ncclDevWorkP2pii@rel64+4
	s_get_pc_i64 s[2:3]
	s_add_nc_u64 s[2:3], s[2:3], __assert_fail@rel64+4
	v_dual_mov_b32 v0, s0 :: v_dual_mov_b32 v1, s1
	s_swap_pc_i64 s[30:31], s[2:3]
	; divergent unreachable
.LBB4_609:
	s_or_b32 exec_lo, exec_lo, s21
	s_clause 0x3
	scratch_load_b32 v43, off, s33
	scratch_load_b32 v42, off, s33 offset:4
	scratch_load_b32 v41, off, s33 offset:8
	;; [unrolled: 1-line block ×3, first 2 shown]
	v_readlane_b32 s30, v44, 0
	v_readlane_b32 s31, v44, 1
	s_mov_b32 s32, s33
	s_wait_xcnt 0x0
	s_or_saveexec_b32 s0, -1
	scratch_load_b32 v44, off, s33 offset:16 ; 4-byte Folded Reload
	s_wait_xcnt 0x0
	s_mov_b32 exec_lo, s0
	s_mov_b32 s33, s43
	s_wait_loadcnt_dscnt 0x0
	s_set_pc_i64 s[30:31]
.Lfunc_end4:
	.size	_ZN12_GLOBAL__N_17runRingIm8FuncProdImE11ProtoSimpleILi1ELi1ELi0ELi2ELi0ELi0EELi0ELi2ELi0EEEviiP15ncclDevWorkColl, .Lfunc_end4-_ZN12_GLOBAL__N_17runRingIm8FuncProdImE11ProtoSimpleILi1ELi1ELi0ELi2ELi0ELi0EELi0ELi2ELi0EEEviiP15ncclDevWorkColl
                                        ; -- End function
	.set .L_ZN12_GLOBAL__N_17runRingIm8FuncProdImE11ProtoSimpleILi1ELi1ELi0ELi2ELi0ELi0EELi0ELi2ELi0EEEviiP15ncclDevWorkColl.num_vgpr, max(120, .L__assert_fail.num_vgpr)
	.set .L_ZN12_GLOBAL__N_17runRingIm8FuncProdImE11ProtoSimpleILi1ELi1ELi0ELi2ELi0ELi0EELi0ELi2ELi0EEEviiP15ncclDevWorkColl.num_agpr, max(0, .L__assert_fail.num_agpr)
	.set .L_ZN12_GLOBAL__N_17runRingIm8FuncProdImE11ProtoSimpleILi1ELi1ELi0ELi2ELi0ELi0EELi0ELi2ELi0EEEviiP15ncclDevWorkColl.numbered_sgpr, max(44, .L__assert_fail.numbered_sgpr)
	.set .L_ZN12_GLOBAL__N_17runRingIm8FuncProdImE11ProtoSimpleILi1ELi1ELi0ELi2ELi0ELi0EELi0ELi2ELi0EEEviiP15ncclDevWorkColl.num_named_barrier, max(0, .L__assert_fail.num_named_barrier)
	.set .L_ZN12_GLOBAL__N_17runRingIm8FuncProdImE11ProtoSimpleILi1ELi1ELi0ELi2ELi0ELi0EELi0ELi2ELi0EEEviiP15ncclDevWorkColl.private_seg_size, 32+max(.L__assert_fail.private_seg_size)
	.set .L_ZN12_GLOBAL__N_17runRingIm8FuncProdImE11ProtoSimpleILi1ELi1ELi0ELi2ELi0ELi0EELi0ELi2ELi0EEEviiP15ncclDevWorkColl.uses_vcc, or(1, .L__assert_fail.uses_vcc)
	.set .L_ZN12_GLOBAL__N_17runRingIm8FuncProdImE11ProtoSimpleILi1ELi1ELi0ELi2ELi0ELi0EELi0ELi2ELi0EEEviiP15ncclDevWorkColl.uses_flat_scratch, or(1, .L__assert_fail.uses_flat_scratch)
	.set .L_ZN12_GLOBAL__N_17runRingIm8FuncProdImE11ProtoSimpleILi1ELi1ELi0ELi2ELi0ELi0EELi0ELi2ELi0EEEviiP15ncclDevWorkColl.has_dyn_sized_stack, or(0, .L__assert_fail.has_dyn_sized_stack)
	.set .L_ZN12_GLOBAL__N_17runRingIm8FuncProdImE11ProtoSimpleILi1ELi1ELi0ELi2ELi0ELi0EELi0ELi2ELi0EEEviiP15ncclDevWorkColl.has_recursion, or(1, .L__assert_fail.has_recursion)
	.set .L_ZN12_GLOBAL__N_17runRingIm8FuncProdImE11ProtoSimpleILi1ELi1ELi0ELi2ELi0ELi0EELi0ELi2ELi0EEEviiP15ncclDevWorkColl.has_indirect_call, or(0, .L__assert_fail.has_indirect_call)
	.section	.AMDGPU.csdata,"",@progbits
; Function info:
; codeLenInByte = 20312
; TotalNumSgprs: 46
; NumVgprs: 120
; ScratchSize: 96
; MemoryBound: 1
	.text
	.p2align	2                               ; -- Begin function _Z45ncclDevFunc_Reduce_RING_SIMPLE_Prod_u64_0_0_2v
	.type	_Z45ncclDevFunc_Reduce_RING_SIMPLE_Prod_u64_0_0_2v,@function
_Z45ncclDevFunc_Reduce_RING_SIMPLE_Prod_u64_0_0_2v: ; @_Z45ncclDevFunc_Reduce_RING_SIMPLE_Prod_u64_0_0_2v
; %bb.0:
	s_wait_loadcnt_dscnt 0x0
	s_wait_kmcnt 0x0
	s_mov_b32 s59, s33
	s_mov_b32 s33, s32
	s_or_saveexec_b32 s0, -1
	scratch_store_b32 off, v42, s33 offset:12 ; 4-byte Folded Spill
	s_wait_xcnt 0x0
	s_mov_b32 exec_lo, s0
	s_add_co_i32 s32, s32, 32
	s_clause 0x2
	scratch_store_b32 off, v40, s33 offset:8
	; meta instruction
	scratch_store_b32 off, v41, s33 offset:4
	; meta instruction
	scratch_store_b32 off, v44, s33
	v_writelane_b32 v42, s30, 0
	v_writelane_b32 v42, s31, 1
	s_trap 2
	ds_load_b32 v0, v0
	s_wait_xcnt 0x2
	v_mov_b32_e32 v40, v31
	s_wait_dscnt 0x0
	v_cmp_gt_i32_e32 vcc_lo, 1, v0
	s_cbranch_vccnz .LBB5_8
; %bb.1:
	s_wait_xcnt 0x1
	v_and_b32_e32 v41, 0x3ff, v40
	s_mov_b32 s46, s12
	s_mov_b64 s[44:45], s[8:9]
	s_mov_b32 s47, 0
	s_get_pc_i64 s[56:57]
	s_add_nc_u64 s[56:57], s[56:57], _ZN12_GLOBAL__N_17runRingIm8FuncProdImE11ProtoSimpleILi1ELi1ELi0ELi2ELi0ELi0EELi0ELi2ELi0EEEviiP15ncclDevWorkColl@rel64+4
	s_branch .LBB5_3
.LBB5_2:                                ;   in Loop: Header=BB5_3 Depth=1
	s_or_b32 exec_lo, exec_lo, s58
	s_trap 2
	ds_load_b32 v0, v0
	s_add_co_i32 s47, s47, 1
	s_wait_dscnt 0x0
	v_cmp_lt_i32_e32 vcc_lo, s47, v0
	s_cbranch_vccz .LBB5_8
.LBB5_3:                                ; =>This Inner Loop Header: Depth=1
	s_trap 2
	ds_load_b32 v0, v0
	s_cmp_eq_u32 s47, 0
	s_cbranch_scc1 .LBB5_6
; %bb.4:                                ;   in Loop: Header=BB5_3 Depth=1
	s_trap 2
	s_wait_dscnt 0x0
	ds_load_b32 v1, v0
	s_wait_dscnt 0x0
	v_xor_b32_e32 v1, v1, v0
	s_delay_alu instid0(VALU_DEP_1) | instskip(NEXT) | instid1(VALU_DEP_1)
	v_and_b32_e32 v1, 0xff0000, v1
	v_cmp_eq_u32_e32 vcc_lo, 0, v1
	s_cbranch_vccnz .LBB5_6
; %bb.5:                                ;   in Loop: Header=BB5_3 Depth=1
	s_wait_storecnt 0x0
	s_barrier_signal -1
	s_barrier_wait -1
	ds_load_b32 v0, v0
.LBB5_6:                                ;   in Loop: Header=BB5_3 Depth=1
	s_wait_dscnt 0x0
	v_lshrrev_b32_e32 v0, 11, v0
	s_mov_b32 s58, exec_lo
	s_delay_alu instid0(VALU_DEP_1) | instskip(SKIP_1) | instid1(VALU_DEP_1)
	v_and_b32_e32 v1, 0x1fe0, v0
	s_wait_xcnt 0x0
	v_cmpx_lt_u32_e64 v41, v1
	s_cbranch_execz .LBB5_2
; %bb.7:                                ;   in Loop: Header=BB5_3 Depth=1
	s_mov_b64 s[0:1], src_shared_base
	v_dual_mov_b32 v31, v40 :: v_dual_mov_b32 v0, v41
	v_mov_b32_e32 v3, s1
	s_mov_b64 s[8:9], s[44:45]
	s_mov_b32 s12, s46
	s_swap_pc_i64 s[30:31], s[56:57]
	s_branch .LBB5_2
.LBB5_8:
	s_clause 0x2
	scratch_load_b32 v44, off, s33
	scratch_load_b32 v41, off, s33 offset:4
	scratch_load_b32 v40, off, s33 offset:8
	v_readlane_b32 s30, v42, 0
	v_readlane_b32 s31, v42, 1
	s_mov_b32 s32, s33
	s_wait_xcnt 0x0
	s_or_saveexec_b32 s0, -1
	scratch_load_b32 v42, off, s33 offset:12 ; 4-byte Folded Reload
	s_wait_xcnt 0x0
	s_mov_b32 exec_lo, s0
	s_mov_b32 s33, s59
	s_wait_loadcnt 0x0
	s_set_pc_i64 s[30:31]
.Lfunc_end5:
	.size	_Z45ncclDevFunc_Reduce_RING_SIMPLE_Prod_u64_0_0_2v, .Lfunc_end5-_Z45ncclDevFunc_Reduce_RING_SIMPLE_Prod_u64_0_0_2v
                                        ; -- End function
	.set .L_Z45ncclDevFunc_Reduce_RING_SIMPLE_Prod_u64_0_0_2v.num_vgpr, max(45, .L_ZN12_GLOBAL__N_17runRingIm8FuncProdImE11ProtoSimpleILi1ELi1ELi0ELi2ELi0ELi0EELi0ELi2ELi0EEEviiP15ncclDevWorkColl.num_vgpr)
	.set .L_Z45ncclDevFunc_Reduce_RING_SIMPLE_Prod_u64_0_0_2v.num_agpr, max(0, .L_ZN12_GLOBAL__N_17runRingIm8FuncProdImE11ProtoSimpleILi1ELi1ELi0ELi2ELi0ELi0EELi0ELi2ELi0EEEviiP15ncclDevWorkColl.num_agpr)
	.set .L_Z45ncclDevFunc_Reduce_RING_SIMPLE_Prod_u64_0_0_2v.numbered_sgpr, max(60, .L_ZN12_GLOBAL__N_17runRingIm8FuncProdImE11ProtoSimpleILi1ELi1ELi0ELi2ELi0ELi0EELi0ELi2ELi0EEEviiP15ncclDevWorkColl.numbered_sgpr)
	.set .L_Z45ncclDevFunc_Reduce_RING_SIMPLE_Prod_u64_0_0_2v.num_named_barrier, max(0, .L_ZN12_GLOBAL__N_17runRingIm8FuncProdImE11ProtoSimpleILi1ELi1ELi0ELi2ELi0ELi0EELi0ELi2ELi0EEEviiP15ncclDevWorkColl.num_named_barrier)
	.set .L_Z45ncclDevFunc_Reduce_RING_SIMPLE_Prod_u64_0_0_2v.private_seg_size, 32+max(.L_ZN12_GLOBAL__N_17runRingIm8FuncProdImE11ProtoSimpleILi1ELi1ELi0ELi2ELi0ELi0EELi0ELi2ELi0EEEviiP15ncclDevWorkColl.private_seg_size)
	.set .L_Z45ncclDevFunc_Reduce_RING_SIMPLE_Prod_u64_0_0_2v.uses_vcc, or(1, .L_ZN12_GLOBAL__N_17runRingIm8FuncProdImE11ProtoSimpleILi1ELi1ELi0ELi2ELi0ELi0EELi0ELi2ELi0EEEviiP15ncclDevWorkColl.uses_vcc)
	.set .L_Z45ncclDevFunc_Reduce_RING_SIMPLE_Prod_u64_0_0_2v.uses_flat_scratch, or(1, .L_ZN12_GLOBAL__N_17runRingIm8FuncProdImE11ProtoSimpleILi1ELi1ELi0ELi2ELi0ELi0EELi0ELi2ELi0EEEviiP15ncclDevWorkColl.uses_flat_scratch)
	.set .L_Z45ncclDevFunc_Reduce_RING_SIMPLE_Prod_u64_0_0_2v.has_dyn_sized_stack, or(0, .L_ZN12_GLOBAL__N_17runRingIm8FuncProdImE11ProtoSimpleILi1ELi1ELi0ELi2ELi0ELi0EELi0ELi2ELi0EEEviiP15ncclDevWorkColl.has_dyn_sized_stack)
	.set .L_Z45ncclDevFunc_Reduce_RING_SIMPLE_Prod_u64_0_0_2v.has_recursion, or(1, .L_ZN12_GLOBAL__N_17runRingIm8FuncProdImE11ProtoSimpleILi1ELi1ELi0ELi2ELi0ELi0EELi0ELi2ELi0EEEviiP15ncclDevWorkColl.has_recursion)
	.set .L_Z45ncclDevFunc_Reduce_RING_SIMPLE_Prod_u64_0_0_2v.has_indirect_call, or(0, .L_ZN12_GLOBAL__N_17runRingIm8FuncProdImE11ProtoSimpleILi1ELi1ELi0ELi2ELi0ELi0EELi0ELi2ELi0EEEviiP15ncclDevWorkColl.has_indirect_call)
	.section	.AMDGPU.csdata,"",@progbits
; Function info:
; codeLenInByte = 464
; TotalNumSgprs: 62
; NumVgprs: 120
; ScratchSize: 128
; MemoryBound: 0
	.text
	.p2align	2                               ; -- Begin function _ZN12_GLOBAL__N_17runRingIm8FuncProdImE11ProtoSimpleILi1ELi1ELi0ELi4ELi0ELi0EELi0ELi4ELi0EEEviiP15ncclDevWorkColl
	.type	_ZN12_GLOBAL__N_17runRingIm8FuncProdImE11ProtoSimpleILi1ELi1ELi0ELi4ELi0ELi0EELi0ELi4ELi0EEEviiP15ncclDevWorkColl,@function
_ZN12_GLOBAL__N_17runRingIm8FuncProdImE11ProtoSimpleILi1ELi1ELi0ELi4ELi0ELi0EELi0ELi4ELi0EEEviiP15ncclDevWorkColl: ; @_ZN12_GLOBAL__N_17runRingIm8FuncProdImE11ProtoSimpleILi1ELi1ELi0ELi4ELi0ELi0EELi0ELi4ELi0EEEviiP15ncclDevWorkColl
; %bb.0:
	s_wait_loadcnt_dscnt 0x0
	s_wait_kmcnt 0x0
	s_mov_b32 s43, s33
	s_mov_b32 s33, s32
	s_or_saveexec_b32 s0, -1
	scratch_store_b32 off, v88, s33 offset:96 ; 4-byte Folded Spill
	s_wait_xcnt 0x0
	s_mov_b32 exec_lo, s0
	s_addk_co_i32 s32, 0x70
	s_clause 0x17
	scratch_store_b32 off, v40, s33 offset:92
	; meta instruction
	scratch_store_b32 off, v41, s33 offset:88
	; meta instruction
	;; [unrolled: 2-line block ×23, first 2 shown]
	scratch_store_b32 off, v79, s33
	v_writelane_b32 v88, s30, 0
	v_writelane_b32 v88, s31, 1
	s_trap 2
	ds_load_b64 v[28:29], v0
	ds_load_b32 v9, v0
	flat_load_b64 v[6:7], v[2:3]
                                        ; implicit-def: $vgpr34_vgpr35
                                        ; implicit-def: $vgpr4_vgpr5
                                        ; implicit-def: $vgpr14_vgpr15
	s_wait_dscnt 0x2
	v_readfirstlane_b32 s0, v28
	v_readfirstlane_b32 s1, v29
	flat_load_u16 v33, v[2:3] offset:8
	flat_load_b32 v21, v29, s[0:1] offset:-4 scale_offset
	s_wait_xcnt 0x0
	s_mov_b32 s0, exec_lo
	s_wait_loadcnt_dscnt 0x202
	v_and_b32_e32 v8, 0xff, v6
	v_mov_b32_e32 v32, v7
	s_delay_alu instid0(VALU_DEP_2)
	v_cmpx_ne_u32_e64 v9, v8
	s_xor_b32 s0, exec_lo, s0
	s_cbranch_execz .LBB6_6
; %bb.1:
	v_bfe_u32 v10, v6, 8, 8
	v_not_b32_e32 v8, v8
	s_mov_b32 s1, exec_lo
                                        ; implicit-def: $vgpr34_vgpr35
                                        ; implicit-def: $vgpr4_vgpr5
                                        ; implicit-def: $vgpr14_vgpr15
	s_delay_alu instid0(VALU_DEP_2)
	v_cmpx_ne_u32_e64 v9, v10
	s_xor_b32 s1, exec_lo, s1
	s_cbranch_execz .LBB6_3
; %bb.2:
	s_clause 0x1
	flat_load_b128 v[4:7], v[2:3] offset:72
	flat_load_b64 v[10:11], v[2:3] offset:96
	v_add_nc_u32_e32 v8, v9, v8
	s_wait_loadcnt_dscnt 0x101
	s_delay_alu instid0(VALU_DEP_1) | instskip(SKIP_3) | instid1(VALU_DEP_3)
	v_mad_nc_u64_u32 v[14:15], v6, v8, v[4:5]
	v_ashrrev_i32_e32 v5, 31, v8
	s_wait_loadcnt_dscnt 0x0
	v_lshrrev_b64 v[34:35], 15, v[10:11]
                                        ; implicit-def: $vgpr10
	v_mad_u32 v4, v7, v8, v15
                                        ; implicit-def: $vgpr8
	s_delay_alu instid0(VALU_DEP_1)
	v_mad_u32 v15, v6, v5, v4
	v_mov_b64_e32 v[4:5], v[6:7]
.LBB6_3:
	s_wait_xcnt 0x0
	s_and_not1_saveexec_b32 s1, s1
	s_cbranch_execz .LBB6_5
; %bb.4:
	s_clause 0x1
	flat_load_b128 v[14:17], v[2:3] offset:72
	flat_load_b128 v[4:7], v[2:3] offset:88
	s_wait_loadcnt_dscnt 0x0
	v_dual_add_nc_u32 v6, v10, v8 :: v_dual_lshrrev_b32 v34, 4, v7
	s_delay_alu instid0(VALU_DEP_1) | instskip(NEXT) | instid1(VALU_DEP_1)
	v_mad_nc_u64_u32 v[14:15], v16, v6, v[14:15]
	v_mad_u32 v8, v17, v6, v15
	v_ashrrev_i32_e32 v6, 31, v6
	s_delay_alu instid0(VALU_DEP_1)
	v_mad_u32 v15, v16, v6, v8
.LBB6_5:
	s_wait_xcnt 0x0
	s_or_b32 exec_lo, exec_lo, s1
.LBB6_6:
	s_and_not1_saveexec_b32 s0, s0
	s_cbranch_execz .LBB6_8
; %bb.7:
	s_clause 0x1
	flat_load_b64 v[6:7], v[2:3] offset:96
	flat_load_b64 v[4:5], v[2:3] offset:72
	v_mov_b64_e32 v[14:15], 0
	s_wait_loadcnt_dscnt 0x101
	v_lshlrev_b64_e32 v[34:35], 6, v[6:7]
.LBB6_8:
	s_wait_xcnt 0x0
	s_or_b32 exec_lo, exec_lo, s0
	s_trap 2
	ds_load_b64 v[6:7], v0
	s_mov_b32 s1, 0
	s_mov_b32 s2, exec_lo
	s_wait_dscnt 0x0
	v_cmp_ne_u32_e32 vcc_lo, -1, v6
	v_cndmask_b32_e64 v51, 0, 1, vcc_lo
	v_cmp_ne_u32_e32 vcc_lo, -1, v7
	s_delay_alu instid0(VALU_DEP_2) | instskip(NEXT) | instid1(VALU_DEP_1)
	v_add_co_ci_u32_e64 v6, null, 0, v51, vcc_lo
	v_lshlrev_b32_e32 v7, 1, v6
	s_delay_alu instid0(VALU_DEP_1)
	v_cmpx_le_u32_e64 v7, v1
	s_xor_b32 s11, exec_lo, s2
	s_cbranch_execz .LBB6_607
; %bb.9:
	s_clause 0x1
	flat_load_b128 v[10:13], v[2:3] offset:16
	flat_load_b64 v[36:37], v[2:3] offset:104
	s_trap 2
	s_load_b32 s0, s[8:9], 0x0
	s_bfe_u32 s2, ttmp6, 0x4000c
	s_and_b32 s3, ttmp6, 15
	s_add_co_i32 s2, s2, 1
	s_getreg_b32 s4, hwreg(HW_REG_IB_STS2, 6, 4)
	s_mul_i32 s2, ttmp9, s2
	v_dual_mov_b32 v2, 0 :: v_dual_mov_b32 v30, 4
	s_add_co_i32 s3, s3, s2
	s_cmp_eq_u32 s4, 0
	s_cselect_b32 s2, ttmp9, s3
	s_wait_kmcnt 0x0
	s_cmp_lt_u32 s2, s0
	s_mov_b32 s2, exec_lo
	s_cselect_b32 s0, 12, 18
	s_delay_alu instid0(SALU_CYCLE_1)
	s_add_nc_u64 s[0:1], s[8:9], s[0:1]
	global_load_u16 v29, v2, s[0:1]
	s_wait_xcnt 0x0
	ds_load_b32 v2, v0
	s_wait_dscnt 0x0
	v_readfirstlane_b32 s1, v2
	v_cmpx_ge_i32_e64 v0, v51
	s_cbranch_execz .LBB6_19
; %bb.10:
	v_cmp_ge_u32_e64 s0, v0, v6
                                        ; implicit-def: $vgpr30
	s_and_saveexec_b32 s3, s0
	s_delay_alu instid0(SALU_CYCLE_1)
	s_xor_b32 s0, exec_lo, s3
	s_cbranch_execz .LBB6_16
; %bb.11:
	v_cndmask_b32_e64 v2, 0, 1, vcc_lo
	s_mov_b32 s3, exec_lo
	s_delay_alu instid0(VALU_DEP_1) | instskip(NEXT) | instid1(VALU_DEP_1)
	v_sub_nc_u32_e32 v2, v1, v2
	v_cmpx_ge_u32_e64 v0, v2
	s_xor_b32 s3, exec_lo, s3
; %bb.12:
                                        ; implicit-def: $vgpr6
; %bb.13:
	s_delay_alu instid0(SALU_CYCLE_1)
	s_or_saveexec_b32 s3, s3
	v_mov_b32_e32 v30, 16
	s_xor_b32 exec_lo, exec_lo, s3
; %bb.14:
	v_sub_nc_u32_e32 v2, v1, v6
	s_delay_alu instid0(VALU_DEP_1)
	v_cmp_lt_i32_e32 vcc_lo, v0, v2
	v_cndmask_b32_e64 v30, 32, 0, vcc_lo
; %bb.15:
	s_or_b32 exec_lo, exec_lo, s3
.LBB6_16:
	s_and_not1_saveexec_b32 s0, s0
; %bb.17:
	v_mov_b32_e32 v30, 8
; %bb.18:
	s_or_b32 exec_lo, exec_lo, s0
.LBB6_19:
	s_delay_alu instid0(SALU_CYCLE_1) | instskip(NEXT) | instid1(VALU_DEP_1)
	s_or_b32 exec_lo, exec_lo, s2
	v_dual_mov_b32 v35, -1 :: v_dual_bitop2_b32 v2, 36, v30 bitop3:0x40
	s_delay_alu instid0(VALU_DEP_1)
	v_cmp_ne_u32_e32 vcc_lo, 0, v2
	s_and_saveexec_b32 s0, vcc_lo
	s_cbranch_execz .LBB6_21
; %bb.20:
	s_trap 2
	ds_load_b32 v35, v0
.LBB6_21:
	s_or_b32 exec_lo, exec_lo, s0
	v_and_b32_e32 v2, 24, v30
	s_mov_b32 s2, exec_lo
	s_delay_alu instid0(VALU_DEP_1)
	v_cmpx_ne_u32_e32 0, v2
	s_cbranch_execz .LBB6_23
; %bb.22:
	s_trap 2
	s_wait_dscnt 0x0
	ds_load_b32 v35, v0
.LBB6_23:
	s_or_b32 exec_lo, exec_lo, s2
	s_wait_loadcnt 0x4
	v_lshrrev_b64 v[2:3], 31, v[32:33]
	v_mov_b64_e32 v[16:17], 0
	v_mov_b64_e32 v[6:7], 0
                                        ; implicit-def: $vgpr20
                                        ; implicit-def: $vgpr24_vgpr25
                                        ; implicit-def: $vgpr22_vgpr23
                                        ; implicit-def: $vgpr18_vgpr19
	s_delay_alu instid0(VALU_DEP_3) | instskip(NEXT) | instid1(VALU_DEP_1)
	v_and_b32_e32 v2, 3, v2
	v_and_b32_e32 v33, 0xffff, v2
                                        ; implicit-def: $vgpr2_vgpr3
	s_and_saveexec_b32 s0, vcc_lo
	s_cbranch_execz .LBB6_33
; %bb.24:
	s_trap 2
	ds_load_b64 v[2:3], v0
	s_wait_dscnt 0x0
	v_readfirstlane_b32 s2, v2
	v_readfirstlane_b32 s3, v3
	flat_load_b64 v[2:3], v35, s[2:3] scale_offset
	s_wait_loadcnt_dscnt 0x0
	v_mad_nc_u64_u32 v[26:27], 0xa8, v33, v[2:3]
	flat_load_b32 v2, v[26:27] offset:640
	s_wait_loadcnt_dscnt 0x0
	v_cmp_eq_u32_e32 vcc_lo, 1, v2
                                        ; implicit-def: $vgpr2_vgpr3
	s_wait_xcnt 0x0
	s_and_saveexec_b32 s2, vcc_lo
	s_cbranch_execz .LBB6_26
; %bb.25:
	flat_load_b64 v[2:3], v[26:27] offset:648
	v_or_b32_e32 v30, 0x2000, v30
	s_wait_loadcnt_dscnt 0x0
	flat_load_b64 v[6:7], v[2:3]
	s_trap 2
	s_wait_loadcnt_dscnt 0x0
	ds_store_b64 v0, v[6:7]
	flat_load_b64 v[6:7], v[2:3] offset:8
	s_wait_loadcnt_dscnt 0x0
	ds_store_b64 v0, v[6:7]
	flat_load_b64 v[6:7], v[2:3] offset:16
	s_wait_loadcnt_dscnt 0x0
	ds_store_b64 v0, v[6:7]
.LBB6_26:
	s_wait_xcnt 0x0
	s_or_b32 exec_lo, exec_lo, s2
	flat_load_b64 v[8:9], v[26:27] offset:608
	v_and_b32_e32 v6, 32, v30
	s_mov_b32 s2, exec_lo
                                        ; implicit-def: $vgpr18_vgpr19
	s_wait_xcnt 0x0
	s_delay_alu instid0(VALU_DEP_1)
	v_cmpx_ne_u32_e32 0, v6
	s_cbranch_execz .LBB6_28
; %bb.27:
	flat_load_b64 v[18:19], v[26:27] offset:560
	global_wb scope:SCOPE_SYS
	s_wait_storecnt 0x0
	s_wait_xcnt 0x0
	s_wait_loadcnt_dscnt 0x0
	flat_store_b64 v[18:19], v[8:9] scope:SCOPE_SYS
.LBB6_28:
	s_wait_xcnt 0x0
	s_or_b32 exec_lo, exec_lo, s2
	v_and_b32_e32 v20, 4, v30
	v_add_nc_u64_e32 v[16:17], 0x1f8, v[26:27]
	v_mov_b64_e32 v[6:7], 0
                                        ; implicit-def: $vgpr24_vgpr25
                                        ; implicit-def: $vgpr22_vgpr23
	s_delay_alu instid0(VALU_DEP_3)
	v_cmp_ne_u32_e32 vcc_lo, 0, v20
                                        ; implicit-def: $vgpr20
	s_and_saveexec_b32 s2, vcc_lo
	s_cbranch_execz .LBB6_32
; %bb.29:
	v_and_b32_e32 v6, 0x800, v30
	s_mov_b32 s3, exec_lo
	s_delay_alu instid0(VALU_DEP_1)
	v_cmpx_eq_u32_e32 0, v6
	s_cbranch_execz .LBB6_31
; %bb.30:
	s_trap 2
	ds_store_b64 v0, v[16:17]
.LBB6_31:
	s_or_b32 exec_lo, exec_lo, s3
	flat_load_b64 v[18:19], v[26:27] offset:552
	s_wait_loadcnt_dscnt 0x0
	flat_load_b64 v[24:25], v[18:19] scope:SCOPE_SYS
	s_clause 0x2
	flat_load_b32 v20, v[26:27] offset:576
	flat_load_b64 v[6:7], v[26:27] offset:600
	flat_load_b64 v[22:23], v[26:27] offset:520
	s_wait_xcnt 0x0
	v_or_b32_e32 v26, 0x100, v30
	s_wait_loadcnt_dscnt 0x101
	v_cmp_eq_u64_e32 vcc_lo, 0, v[6:7]
	s_delay_alu instid0(VALU_DEP_2)
	v_dual_ashrrev_i32 v20, 3, v20 :: v_dual_cndmask_b32 v30, v26, v30, vcc_lo
.LBB6_32:
	s_or_b32 exec_lo, exec_lo, s2
.LBB6_33:
	s_delay_alu instid0(SALU_CYCLE_1) | instskip(NEXT) | instid1(VALU_DEP_1)
	s_or_b32 exec_lo, exec_lo, s0
	v_and_b32_e32 v26, 24, v30
	s_delay_alu instid0(VALU_DEP_1)
	v_cmp_ne_u32_e32 vcc_lo, 0, v26
                                        ; implicit-def: $vgpr26_vgpr27
	s_and_saveexec_b32 s0, vcc_lo
	s_cbranch_execz .LBB6_41
; %bb.34:
	s_trap 2
	ds_load_b64 v[6:7], v0
	v_or_b32_e32 v26, 0x100, v30
	s_wait_dscnt 0x0
	v_readfirstlane_b32 s2, v6
	v_readfirstlane_b32 s3, v7
	flat_load_b64 v[6:7], v35, s[2:3] scale_offset
	s_wait_loadcnt_dscnt 0x0
	v_mad_nc_u64_u32 v[16:17], 0xa8, v33, v[6:7]
	flat_load_b128 v[6:9], v[16:17] offset:96
	s_wait_loadcnt_dscnt 0x0
	v_cmp_eq_u64_e32 vcc_lo, 0, v[6:7]
	v_cndmask_b32_e32 v30, v26, v30, vcc_lo
	s_delay_alu instid0(VALU_DEP_1) | instskip(NEXT) | instid1(VALU_DEP_1)
	v_and_b32_e32 v26, 16, v30
	v_cmp_ne_u32_e32 vcc_lo, 0, v26
                                        ; implicit-def: $vgpr26_vgpr27
	s_wait_xcnt 0x0
	s_and_saveexec_b32 s2, vcc_lo
	s_cbranch_execz .LBB6_36
; %bb.35:
	s_clause 0x2
	flat_load_b64 v[18:19], v[16:17] offset:48
	flat_load_b64 v[26:27], v[16:17] offset:120
	;; [unrolled: 1-line block ×3, first 2 shown]
.LBB6_36:
	s_wait_xcnt 0x0
	s_or_b32 exec_lo, exec_lo, s2
	v_and_b32_e32 v33, 8, v30
	s_mov_b32 s2, exec_lo
	s_delay_alu instid0(VALU_DEP_1)
	v_cmpx_ne_u32_e32 0, v33
	s_cbranch_execz .LBB6_40
; %bb.37:
	s_wait_loadcnt_dscnt 0x202
	v_and_b32_e32 v18, 0x800, v30
	s_mov_b32 s3, exec_lo
	s_delay_alu instid0(VALU_DEP_1)
	v_cmpx_eq_u32_e32 0, v18
	s_cbranch_execz .LBB6_39
; %bb.38:
	s_trap 2
	ds_store_b64 v0, v[16:17]
.LBB6_39:
	s_or_b32 exec_lo, exec_lo, s3
	flat_load_b64 v[18:19], v[16:17] offset:56
	s_wait_loadcnt_dscnt 0x0
	flat_load_b64 v[24:25], v[18:19] scope:SCOPE_SYS
	s_clause 0x1
	flat_load_b32 v20, v[16:17] offset:72
	flat_load_b64 v[22:23], v[16:17] offset:16
	s_wait_loadcnt_dscnt 0x101
	v_ashrrev_i32_e32 v20, 3, v20
.LBB6_40:
	s_wait_xcnt 0x0
	s_or_b32 exec_lo, exec_lo, s2
.LBB6_41:
	s_delay_alu instid0(SALU_CYCLE_1)
	s_or_b32 exec_lo, exec_lo, s0
	v_cmp_eq_u32_e64 s0, 0, v0
	s_and_saveexec_b32 s2, s0
	s_cbranch_execz .LBB6_43
; %bb.42:
	v_mov_b64_e32 v[38:39], 0
	s_wait_loadcnt 0x2
	ds_store_2addr_b64 v0, v[12:13], v[10:11] offset1:1
	s_trap 2
	ds_store_b64 v0, v[38:39]
	s_wait_loadcnt 0x1
	ds_store_b64 v0, v[36:37]
.LBB6_43:
	s_or_b32 exec_lo, exec_lo, s2
	s_ashr_i32 s2, s1, 31
	s_wait_loadcnt 0x2
	v_and_b32_e32 v12, 0x7ffffc0, v34
	s_lshr_b32 s2, s2, 29
	v_bfe_u32 v32, v32, 1, 30
	v_mov_b32_e32 v13, 0
	s_wait_loadcnt 0x0
	v_and_b32_e32 v84, 0xffff, v29
	s_add_co_i32 s1, s1, s2
                                        ; implicit-def: $vgpr10_vgpr11
	s_delay_alu instid0(SALU_CYCLE_1)
	s_ashr_i32 s10, s1, 6
	s_mov_b32 s1, exec_lo
	v_cmpx_ne_u32_e64 v21, v32
	s_xor_b32 s12, exec_lo, s1
	s_cbranch_execz .LBB6_397
; %bb.44:
                                        ; implicit-def: $vgpr10_vgpr11
	s_mov_b32 s1, exec_lo
	v_cmpx_ne_u32_e64 v28, v32
	s_xor_b32 s13, exec_lo, s1
	s_cbranch_execz .LBB6_226
; %bb.45:
	v_mov_b64_e32 v[10:11], 0
	s_mov_b32 s14, exec_lo
	v_cmpx_ne_u64_e32 0, v[4:5]
	s_cbranch_execz .LBB6_225
; %bb.46:
	v_dual_ashrrev_i32 v10, 31, v0 :: v_dual_bitop2_b32 v11, 31, v31 bitop3:0x40
	v_dual_ashrrev_i32 v21, 31, v20 :: v_dual_mov_b32 v33, 0
	s_delay_alu instid0(VALU_DEP_2)
	v_dual_lshlrev_b32 v32, 3, v1 :: v_dual_lshrrev_b32 v10, 27, v10
	s_lshr_b32 s4, s10, 27
	s_wait_dscnt 0x1
	v_cmp_eq_u64_e64 s7, 0, v[26:27]
	s_add_co_i32 s4, s10, s4
	v_cmp_eq_u32_e32 vcc_lo, 32, v1
	v_dual_add_nc_u32 v10, v0, v10 :: v_dual_lshrrev_b32 v28, 5, v1
	s_ashr_i32 s15, s4, 5
	v_cmp_eq_u32_e64 s4, 0, v11
	v_mov_b64_e32 v[52:53], 0
	s_delay_alu instid0(VALU_DEP_3) | instskip(SKIP_3) | instid1(VALU_DEP_3)
	v_and_b32_e32 v34, 0xffffffe0, v10
	v_dual_ashrrev_i32 v85, 5, v10 :: v_dual_mov_b32 v29, v33
	v_mov_b64_e32 v[54:55], 0
	v_cmp_ge_i32_e64 s1, v0, v1
	v_dual_sub_nc_u32 v86, v0, v34 :: v_dual_lshlrev_b32 v10, 11, v85
	v_cmp_ne_u32_e64 s2, 32, v1
	v_cmp_ne_u32_e64 s3, v1, v84
	s_wait_dscnt 0x0
	v_dual_mov_b32 v35, v33 :: v_dual_lshlrev_b32 v34, 11, v28
	v_lshl_add_u32 v38, v86, 4, v10
	v_mov_b64_e32 v[10:11], 0
	v_dual_mov_b32 v37, v33 :: v_dual_lshlrev_b32 v36, 9, v28
	v_dual_mov_b32 v49, v33 :: v_dual_lshlrev_b32 v48, 10, v28
	v_cmp_le_i32_e64 s5, v86, v51
	v_cmp_lt_i32_e64 s6, v86, v51
	v_dual_ashrrev_i32 v39, 31, v38 :: v_dual_mov_b32 v51, v33
	v_and_b32_e32 v50, 0xff00, v32
	v_dual_mov_b32 v87, 1 :: v_dual_mov_b32 v96, 0x90
	s_mov_b32 s16, 0
	s_xor_b32 s17, vcc_lo, -1
	s_xor_b32 s18, s7, -1
	s_trap 2
	s_branch .LBB6_49
.LBB6_47:                               ;   in Loop: Header=BB6_49 Depth=1
	s_wait_xcnt 0x0
	s_or_b32 exec_lo, exec_lo, s7
.LBB6_48:                               ;   in Loop: Header=BB6_49 Depth=1
	s_delay_alu instid0(SALU_CYCLE_1) | instskip(SKIP_1) | instid1(VALU_DEP_1)
	s_or_b32 exec_lo, exec_lo, s20
	v_add_nc_u64_e32 v[54:55], v[54:55], v[12:13]
	v_cmp_ge_u64_e32 vcc_lo, v[54:55], v[4:5]
	s_or_b32 s16, vcc_lo, s16
	s_delay_alu instid0(SALU_CYCLE_1)
	s_and_not1_b32 exec_lo, exec_lo, s16
	s_cbranch_execz .LBB6_224
.LBB6_49:                               ; =>This Loop Header: Depth=1
                                        ;     Child Loop BB6_58 Depth 2
                                        ;     Child Loop BB6_86 Depth 2
	;; [unrolled: 1-line block ×10, first 2 shown]
	v_sub_nc_u64_e32 v[64:65], v[4:5], v[54:55]
	s_delay_alu instid0(VALU_DEP_1) | instskip(NEXT) | instid1(VALU_DEP_1)
	v_min_u64 v[64:65], v[12:13], v[64:65]
	v_add_nc_u32_e32 v32, 15, v64
	s_delay_alu instid0(VALU_DEP_2) | instskip(NEXT) | instid1(VALU_DEP_2)
	v_cmp_eq_u64_e32 vcc_lo, 0, v[64:65]
	v_and_b32_e32 v32, 0xffffff0, v32
	s_or_b32 s19, s1, vcc_lo
	s_delay_alu instid0(SALU_CYCLE_1) | instskip(NEXT) | instid1(VALU_DEP_1)
	s_xor_b32 s7, s19, -1
	v_dual_mov_b32 v32, 0 :: v_dual_max_i32 v65, s15, v32
	s_and_saveexec_b32 s20, s7
	s_cbranch_execz .LBB6_172
; %bb.50:                               ;   in Loop: Header=BB6_49 Depth=1
	s_and_saveexec_b32 s7, s0
	s_cbranch_execz .LBB6_52
; %bb.51:                               ;   in Loop: Header=BB6_49 Depth=1
	s_trap 2
	ds_load_b64 v[66:67], v0
	s_wait_dscnt 0x0
	v_lshl_add_u64 v[66:67], v[14:15], 3, v[66:67]
	s_delay_alu instid0(VALU_DEP_1)
	v_lshl_add_u64 v[66:67], v[54:55], 3, v[66:67]
	ds_store_b64 v0, v[66:67]
	ds_store_b64 v0, v[52:53]
.LBB6_52:                               ;   in Loop: Header=BB6_49 Depth=1
	s_or_b32 exec_lo, exec_lo, s7
	v_and_b32_e32 v32, 12, v30
	v_min_u32_e32 v65, v65, v64
	s_mov_b32 s21, exec_lo
	s_delay_alu instid0(VALU_DEP_2)
	v_cmpx_ne_u32_e32 0, v32
	s_cbranch_execz .LBB6_78
; %bb.53:                               ;   in Loop: Header=BB6_49 Depth=1
	v_and_b32_e32 v32, 8, v30
	v_add_nc_u64_e32 v[66:67], 1, v[8:9]
	s_mov_b32 s22, exec_lo
	s_wait_loadcnt 0x0
	s_delay_alu instid0(VALU_DEP_2) | instskip(NEXT) | instid1(VALU_DEP_1)
	v_add_nc_u64_e32 v[68:69], v[24:25], v[32:33]
	v_cmpx_lt_u64_e64 v[68:69], v[66:67]
	s_cbranch_execz .LBB6_65
; %bb.54:                               ;   in Loop: Header=BB6_49 Depth=1
	v_and_b32_e32 v9, 64, v30
	s_mov_b32 s23, 0
	s_mov_b32 s27, 0
                                        ; implicit-def: $sgpr24
                                        ; implicit-def: $sgpr25
                                        ; implicit-def: $sgpr26
	s_delay_alu instid0(VALU_DEP_1)
	v_cmp_eq_u32_e32 vcc_lo, 0, v9
	s_branch .LBB6_58
.LBB6_55:                               ;   in Loop: Header=BB6_58 Depth=2
	s_wait_loadcnt_dscnt 0x0
	v_add_nc_u64_e32 v[68:69], v[24:25], v[32:33]
	s_or_b32 s40, s40, exec_lo
	s_delay_alu instid0(VALU_DEP_1)
	v_cmp_ge_u64_e64 s7, v[68:69], v[66:67]
	s_or_not1_b32 s29, s7, exec_lo
.LBB6_56:                               ;   in Loop: Header=BB6_58 Depth=2
	s_or_b32 exec_lo, exec_lo, s42
	s_delay_alu instid0(SALU_CYCLE_1)
	s_and_not1_b32 s7, s26, exec_lo
	s_and_b32 s26, s40, exec_lo
	s_and_not1_b32 s25, s25, exec_lo
	s_and_b32 s29, s29, exec_lo
	s_or_b32 s26, s7, s26
	s_or_b32 s25, s25, s29
.LBB6_57:                               ;   in Loop: Header=BB6_58 Depth=2
	s_or_b32 exec_lo, exec_lo, s28
	s_delay_alu instid0(SALU_CYCLE_1) | instskip(NEXT) | instid1(SALU_CYCLE_1)
	s_and_b32 s7, exec_lo, s25
	s_or_b32 s23, s7, s23
	s_and_not1_b32 s7, s24, exec_lo
	s_and_b32 s24, s26, exec_lo
	s_delay_alu instid0(SALU_CYCLE_1)
	s_or_b32 s24, s7, s24
	s_and_not1_b32 exec_lo, exec_lo, s23
	s_cbranch_execz .LBB6_62
.LBB6_58:                               ;   Parent Loop BB6_49 Depth=1
                                        ; =>  This Inner Loop Header: Depth=2
	s_sleep 1
	s_wait_loadcnt_dscnt 0x0
	flat_load_b64 v[24:25], v[18:19] scope:SCOPE_SYS
	s_or_b32 s26, s26, exec_lo
	s_or_b32 s25, s25, exec_lo
                                        ; implicit-def: $vgpr9
	s_wait_xcnt 0x0
	s_and_saveexec_b32 s28, vcc_lo
	s_cbranch_execz .LBB6_57
; %bb.59:                               ;   in Loop: Header=BB6_58 Depth=2
	s_cmp_lt_i32 s27, 0x270f
	s_mov_b32 s29, -1
	s_cselect_b32 s41, -1, 0
	s_cmp_gt_i32 s27, 0x270e
	s_cbranch_scc0 .LBB6_61
; %bb.60:                               ;   in Loop: Header=BB6_58 Depth=2
	s_trap 2
	ds_load_b64 v[68:69], v0
	s_and_not1_b32 s27, s41, exec_lo
	s_mov_b32 s40, 0
	s_wait_storecnt 0x0
	s_wait_loadcnt_dscnt 0x0
	flat_load_b32 v9, v[68:69] scope:SCOPE_SYS
	s_wait_loadcnt_dscnt 0x0
	global_inv scope:SCOPE_SYS
	v_cmp_eq_u32_e64 s7, 0, v9
	s_and_b32 s7, s7, exec_lo
	s_delay_alu instid0(SALU_CYCLE_1)
	s_or_b32 s41, s27, s7
	s_mov_b32 s27, 0
	s_and_saveexec_b32 s42, s41
	s_cbranch_execz .LBB6_56
	s_branch .LBB6_55
.LBB6_61:                               ;   in Loop: Header=BB6_58 Depth=2
	s_add_co_i32 s27, s27, 1
	s_mov_b32 s40, -1
                                        ; implicit-def: $vgpr9
	s_and_saveexec_b32 s42, s41
	s_cbranch_execz .LBB6_56
	s_branch .LBB6_55
.LBB6_62:                               ;   in Loop: Header=BB6_49 Depth=1
	s_or_b32 exec_lo, exec_lo, s23
	s_xor_b32 s7, s24, -1
	s_delay_alu instid0(SALU_CYCLE_1) | instskip(NEXT) | instid1(SALU_CYCLE_1)
	s_and_saveexec_b32 s23, s7
	s_xor_b32 s7, exec_lo, s23
	s_cbranch_execz .LBB6_64
; %bb.63:                               ;   in Loop: Header=BB6_49 Depth=1
	v_or_b32_e32 v30, 64, v30
	s_wait_storecnt 0x0
	s_wait_loadcnt_dscnt 0x0
	ds_store_b32 v0, v9
	s_trap 2
.LBB6_64:                               ;   in Loop: Header=BB6_49 Depth=1
	s_or_b32 exec_lo, exec_lo, s7
.LBB6_65:                               ;   in Loop: Header=BB6_49 Depth=1
	s_delay_alu instid0(SALU_CYCLE_1) | instskip(SKIP_2) | instid1(VALU_DEP_1)
	s_or_b32 exec_lo, exec_lo, s22
	v_and_b32_e32 v9, 0x108, v30
	;;#ASMSTART
	s_wakeup
	;;#ASMEND
	v_cmp_ne_u32_e32 vcc_lo, 0x108, v9
	v_and_b32_e32 v8, 7, v8
	s_and_saveexec_b32 s7, vcc_lo
	s_delay_alu instid0(SALU_CYCLE_1)
	s_xor_b32 s7, exec_lo, s7
; %bb.66:                               ;   in Loop: Header=BB6_49 Depth=1
	v_mov_b32_e32 v9, v33
; %bb.67:                               ;   in Loop: Header=BB6_49 Depth=1
	s_and_not1_saveexec_b32 s7, s7
	s_cbranch_execz .LBB6_69
; %bb.68:                               ;   in Loop: Header=BB6_49 Depth=1
	v_mad_nc_u64_u32 v[68:69], v8, 24, v[6:7]
	v_dual_mov_b32 v71, v33 :: v_dual_lshlrev_b32 v70, 3, v65
	v_mov_b32_e32 v9, v33
	flat_store_b64 v[68:69], v[70:71] offset:8
.LBB6_69:                               ;   in Loop: Header=BB6_49 Depth=1
	s_wait_xcnt 0x0
	s_or_b32 exec_lo, exec_lo, s7
	v_and_b32_e32 v68, 0x100, v30
	s_mov_b32 s7, -1
	s_delay_alu instid0(VALU_DEP_1)
	v_cmp_ne_u32_e32 vcc_lo, 0, v68
                                        ; implicit-def: $vgpr68_vgpr69
	s_and_saveexec_b32 s22, vcc_lo
	s_cbranch_execz .LBB6_73
; %bb.70:                               ;   in Loop: Header=BB6_49 Depth=1
	v_mad_nc_u64_u32 v[70:71], v8, 24, v[6:7]
	s_delay_alu instid0(VALU_DEP_1)
	v_mad_u32 v71, v9, 24, v71
	flat_load_b32 v68, v[70:71]
	s_wait_loadcnt_dscnt 0x0
	v_cmp_eq_u32_e64 s7, 1, v68
	v_cmp_ne_u32_e32 vcc_lo, 1, v68
                                        ; implicit-def: $vgpr68_vgpr69
	s_wait_xcnt 0x0
	s_and_saveexec_b32 s23, s7
	s_cbranch_execz .LBB6_72
; %bb.71:                               ;   in Loop: Header=BB6_49 Depth=1
	flat_load_b32 v68, v[70:71] offset:4 scope:SCOPE_SYS
	s_wait_loadcnt_dscnt 0x0
	v_ashrrev_i32_e32 v69, 31, v68
	s_delay_alu instid0(VALU_DEP_1)
	v_lshrrev_b64 v[68:69], 3, v[68:69]
.LBB6_72:                               ;   in Loop: Header=BB6_49 Depth=1
	s_wait_xcnt 0x0
	s_or_b32 exec_lo, exec_lo, s23
	s_delay_alu instid0(SALU_CYCLE_1)
	s_or_not1_b32 s7, vcc_lo, exec_lo
.LBB6_73:                               ;   in Loop: Header=BB6_49 Depth=1
	s_or_b32 exec_lo, exec_lo, s22
	s_and_saveexec_b32 s22, s7
; %bb.74:                               ;   in Loop: Header=BB6_49 Depth=1
	v_mul_u64_e32 v[68:69], v[8:9], v[20:21]
; %bb.75:                               ;   in Loop: Header=BB6_49 Depth=1
	s_or_b32 exec_lo, exec_lo, s22
	v_cmp_eq_u32_e32 vcc_lo, 0, v32
	v_and_b32_e32 v70, 0x2000, v30
	s_delay_alu instid0(VALU_DEP_3) | instskip(SKIP_2) | instid1(VALU_DEP_1)
	v_lshl_add_u64 v[8:9], v[68:69], 3, v[22:23]
	s_mov_b32 s7, exec_lo
	v_cndmask_b32_e32 v32, 0xc8, v96, vcc_lo
	v_add_nc_u32_e32 v32, v0, v32
	ds_store_b64 v32, v[8:9] offset:584
	v_cmpx_ne_u32_e32 0, v70
	s_cbranch_execz .LBB6_77
; %bb.76:                               ;   in Loop: Header=BB6_49 Depth=1
	ds_load_b64 v[8:9], v0 offset:872
	s_wait_dscnt 0x0
	v_add_nc_u64_e32 v[8:9], 1, v[8:9]
	ds_store_b64 v0, v[8:9] offset:872
.LBB6_77:                               ;   in Loop: Header=BB6_49 Depth=1
	s_or_b32 exec_lo, exec_lo, s7
	v_mov_b64_e32 v[8:9], v[66:67]
.LBB6_78:                               ;   in Loop: Header=BB6_49 Depth=1
	s_or_b32 exec_lo, exec_lo, s21
	s_and_saveexec_b32 s7, s2
	s_cbranch_execz .LBB6_97
; %bb.79:                               ;   in Loop: Header=BB6_49 Depth=1
	s_and_saveexec_b32 s21, s3
	s_delay_alu instid0(SALU_CYCLE_1)
	s_xor_b32 s21, exec_lo, s21
	s_cbranch_execz .LBB6_94
; %bb.80:                               ;   in Loop: Header=BB6_49 Depth=1
	s_and_saveexec_b32 s22, s4
	s_cbranch_execz .LBB6_93
; %bb.81:                               ;   in Loop: Header=BB6_49 Depth=1
	s_mov_b32 s24, exec_lo
	s_mov_b32 s23, exec_lo
	v_mbcnt_lo_u32_b32 v32, s24, 0
	global_wb scope:SCOPE_DEV
	s_wait_storecnt 0x0
	s_wait_loadcnt_dscnt 0x0
	global_inv scope:SCOPE_DEV
	v_cmpx_eq_u32_e32 0, v32
	s_cbranch_execz .LBB6_83
; %bb.82:                               ;   in Loop: Header=BB6_49 Depth=1
	s_bcnt1_i32_b32 s24, s24
	s_delay_alu instid0(SALU_CYCLE_1)
	v_mov_b32_e32 v32, s24
	s_wait_loadcnt 0x0
	ds_add_u64 v0, v[32:33]
	s_trap 2
.LBB6_83:                               ;   in Loop: Header=BB6_49 Depth=1
	s_or_b32 exec_lo, exec_lo, s23
	s_trap 2
	ds_load_b64 v[66:67], v0
	s_wait_dscnt 0x0
	v_add_nc_u64_e32 v[10:11], v[10:11], v[28:29]
	s_mov_b32 s23, exec_lo
	s_delay_alu instid0(VALU_DEP_1)
	v_cmpx_lt_u64_e64 v[66:67], v[10:11]
	s_cbranch_execz .LBB6_92
; %bb.84:                               ;   in Loop: Header=BB6_49 Depth=1
	s_mov_b32 s24, 0
	s_mov_b32 s27, 0
                                        ; implicit-def: $sgpr25
                                        ; implicit-def: $sgpr26
	s_branch .LBB6_86
.LBB6_85:                               ;   in Loop: Header=BB6_86 Depth=2
	s_or_b32 exec_lo, exec_lo, s29
	s_delay_alu instid0(SALU_CYCLE_1) | instskip(NEXT) | instid1(SALU_CYCLE_1)
	s_and_b32 s28, exec_lo, s40
	s_or_b32 s24, s28, s24
	s_and_not1_b32 s25, s25, exec_lo
	s_and_b32 s28, s26, exec_lo
	s_delay_alu instid0(SALU_CYCLE_1)
	s_or_b32 s25, s25, s28
	s_and_not1_b32 exec_lo, exec_lo, s24
	s_cbranch_execz .LBB6_90
.LBB6_86:                               ;   Parent Loop BB6_49 Depth=1
                                        ; =>  This Inner Loop Header: Depth=2
	s_add_co_i32 s27, s27, 1
	s_delay_alu instid0(SALU_CYCLE_1) | instskip(SKIP_1) | instid1(SALU_CYCLE_1)
	s_cmp_lg_u32 s27, 0x2710
	s_cselect_b32 s28, -1, 0
	s_and_b32 vcc_lo, exec_lo, s28
	s_cbranch_vccz .LBB6_88
; %bb.87:                               ;   in Loop: Header=BB6_86 Depth=2
	s_mov_b32 s40, -1
	s_or_b32 s26, s26, exec_lo
	s_and_saveexec_b32 s29, s28
	s_cbranch_execz .LBB6_85
	s_branch .LBB6_89
.LBB6_88:                               ;   in Loop: Header=BB6_86 Depth=2
	s_trap 2
	ds_load_b64 v[66:67], v0
	s_and_not1_b32 s28, s28, exec_lo
	s_mov_b32 s27, 0
	s_wait_loadcnt_dscnt 0x0
	flat_load_b32 v32, v[66:67] scope:SCOPE_SYS
	s_wait_loadcnt_dscnt 0x0
	global_inv scope:SCOPE_SYS
	v_cmp_eq_u32_e32 vcc_lo, 0, v32
	s_and_b32 s29, vcc_lo, exec_lo
	s_delay_alu instid0(SALU_CYCLE_1)
	s_or_b32 s28, s28, s29
	s_mov_b32 s40, -1
	s_or_b32 s26, s26, exec_lo
	s_and_saveexec_b32 s29, s28
	s_cbranch_execz .LBB6_85
.LBB6_89:                               ;   in Loop: Header=BB6_86 Depth=2
	s_sleep 1
	s_trap 2
	ds_load_b64 v[66:67], v0
	s_wait_dscnt 0x0
	s_and_not1_b32 s26, s26, exec_lo
	v_cmp_ge_u64_e32 vcc_lo, v[66:67], v[10:11]
	s_or_not1_b32 s40, vcc_lo, exec_lo
	s_branch .LBB6_85
.LBB6_90:                               ;   in Loop: Header=BB6_49 Depth=1
	s_or_b32 exec_lo, exec_lo, s24
	s_and_saveexec_b32 s24, s25
	s_delay_alu instid0(SALU_CYCLE_1)
	s_xor_b32 s24, exec_lo, s24
	s_cbranch_execz .LBB6_92
; %bb.91:                               ;   in Loop: Header=BB6_49 Depth=1
	ds_store_b32 v0, v87
	s_trap 2
.LBB6_92:                               ;   in Loop: Header=BB6_49 Depth=1
	s_or_b32 exec_lo, exec_lo, s23
	;;#ASMSTART
	s_wakeup
	;;#ASMEND
.LBB6_93:                               ;   in Loop: Header=BB6_49 Depth=1
	s_or_b32 exec_lo, exec_lo, s22
.LBB6_94:                               ;   in Loop: Header=BB6_49 Depth=1
	s_and_not1_saveexec_b32 s21, s21
	s_cbranch_execz .LBB6_96
; %bb.95:                               ;   in Loop: Header=BB6_49 Depth=1
	global_wb scope:SCOPE_DEV
	s_wait_storecnt 0x0
	s_wait_loadcnt_dscnt 0x0
	global_inv scope:SCOPE_DEV
	s_barrier_signal -1
	s_barrier_wait -1
.LBB6_96:                               ;   in Loop: Header=BB6_49 Depth=1
	s_or_b32 exec_lo, exec_lo, s21
.LBB6_97:                               ;   in Loop: Header=BB6_49 Depth=1
	s_delay_alu instid0(SALU_CYCLE_1) | instskip(SKIP_3) | instid1(VALU_DEP_1)
	s_or_b32 exec_lo, exec_lo, s7
	s_trap 2
	ds_load_b32 v70, v0
	v_and_b32_e32 v32, 0x4000, v30
	v_cmp_ne_u32_e32 vcc_lo, 0, v32
	s_and_b32 s21, s17, vcc_lo
	s_delay_alu instid0(SALU_CYCLE_1)
	s_and_saveexec_b32 s7, s21
	s_cbranch_execz .LBB6_116
; %bb.98:                               ;   in Loop: Header=BB6_49 Depth=1
	s_and_saveexec_b32 s21, s3
	s_delay_alu instid0(SALU_CYCLE_1)
	s_xor_b32 s21, exec_lo, s21
	s_cbranch_execz .LBB6_113
; %bb.99:                               ;   in Loop: Header=BB6_49 Depth=1
	s_and_saveexec_b32 s22, s4
	s_cbranch_execz .LBB6_112
; %bb.100:                              ;   in Loop: Header=BB6_49 Depth=1
	s_mov_b32 s24, exec_lo
	s_mov_b32 s23, exec_lo
	v_mbcnt_lo_u32_b32 v32, s24, 0
	global_wb scope:SCOPE_DEV
	s_wait_storecnt 0x0
	s_wait_loadcnt_dscnt 0x0
	global_inv scope:SCOPE_DEV
	v_cmpx_eq_u32_e32 0, v32
	s_cbranch_execz .LBB6_102
; %bb.101:                              ;   in Loop: Header=BB6_49 Depth=1
	s_bcnt1_i32_b32 s24, s24
	s_delay_alu instid0(SALU_CYCLE_1)
	v_mov_b32_e32 v32, s24
	s_wait_loadcnt 0x0
	ds_add_u64 v0, v[32:33]
	s_trap 2
.LBB6_102:                              ;   in Loop: Header=BB6_49 Depth=1
	s_or_b32 exec_lo, exec_lo, s23
	s_trap 2
	ds_load_b64 v[66:67], v0
	s_wait_dscnt 0x0
	v_add_nc_u64_e32 v[10:11], v[10:11], v[28:29]
	s_mov_b32 s23, exec_lo
	s_delay_alu instid0(VALU_DEP_1)
	v_cmpx_lt_u64_e64 v[66:67], v[10:11]
	s_cbranch_execz .LBB6_111
; %bb.103:                              ;   in Loop: Header=BB6_49 Depth=1
	s_mov_b32 s24, 0
	s_mov_b32 s27, 0
                                        ; implicit-def: $sgpr25
                                        ; implicit-def: $sgpr26
	s_branch .LBB6_105
.LBB6_104:                              ;   in Loop: Header=BB6_105 Depth=2
	s_or_b32 exec_lo, exec_lo, s29
	s_delay_alu instid0(SALU_CYCLE_1) | instskip(NEXT) | instid1(SALU_CYCLE_1)
	s_and_b32 s28, exec_lo, s40
	s_or_b32 s24, s28, s24
	s_and_not1_b32 s25, s25, exec_lo
	s_and_b32 s28, s26, exec_lo
	s_delay_alu instid0(SALU_CYCLE_1)
	s_or_b32 s25, s25, s28
	s_and_not1_b32 exec_lo, exec_lo, s24
	s_cbranch_execz .LBB6_109
.LBB6_105:                              ;   Parent Loop BB6_49 Depth=1
                                        ; =>  This Inner Loop Header: Depth=2
	s_add_co_i32 s27, s27, 1
	s_delay_alu instid0(SALU_CYCLE_1) | instskip(SKIP_1) | instid1(SALU_CYCLE_1)
	s_cmp_lg_u32 s27, 0x2710
	s_cselect_b32 s28, -1, 0
	s_and_b32 vcc_lo, exec_lo, s28
	s_cbranch_vccz .LBB6_107
; %bb.106:                              ;   in Loop: Header=BB6_105 Depth=2
	s_mov_b32 s40, -1
	s_or_b32 s26, s26, exec_lo
	s_and_saveexec_b32 s29, s28
	s_cbranch_execz .LBB6_104
	s_branch .LBB6_108
.LBB6_107:                              ;   in Loop: Header=BB6_105 Depth=2
	s_trap 2
	ds_load_b64 v[66:67], v0
	s_and_not1_b32 s28, s28, exec_lo
	s_mov_b32 s27, 0
	s_wait_loadcnt_dscnt 0x0
	flat_load_b32 v32, v[66:67] scope:SCOPE_SYS
	s_wait_loadcnt_dscnt 0x0
	global_inv scope:SCOPE_SYS
	v_cmp_eq_u32_e32 vcc_lo, 0, v32
	s_and_b32 s29, vcc_lo, exec_lo
	s_delay_alu instid0(SALU_CYCLE_1)
	s_or_b32 s28, s28, s29
	s_mov_b32 s40, -1
	s_or_b32 s26, s26, exec_lo
	s_and_saveexec_b32 s29, s28
	s_cbranch_execz .LBB6_104
.LBB6_108:                              ;   in Loop: Header=BB6_105 Depth=2
	s_sleep 1
	s_trap 2
	ds_load_b64 v[66:67], v0
	s_wait_dscnt 0x0
	s_and_not1_b32 s26, s26, exec_lo
	v_cmp_ge_u64_e32 vcc_lo, v[66:67], v[10:11]
	s_or_not1_b32 s40, vcc_lo, exec_lo
	s_branch .LBB6_104
.LBB6_109:                              ;   in Loop: Header=BB6_49 Depth=1
	s_or_b32 exec_lo, exec_lo, s24
	s_and_saveexec_b32 s24, s25
	s_delay_alu instid0(SALU_CYCLE_1)
	s_xor_b32 s24, exec_lo, s24
	s_cbranch_execz .LBB6_111
; %bb.110:                              ;   in Loop: Header=BB6_49 Depth=1
	ds_store_b32 v0, v87
	s_trap 2
.LBB6_111:                              ;   in Loop: Header=BB6_49 Depth=1
	s_or_b32 exec_lo, exec_lo, s23
	;;#ASMSTART
	s_wakeup
	;;#ASMEND
.LBB6_112:                              ;   in Loop: Header=BB6_49 Depth=1
	s_or_b32 exec_lo, exec_lo, s22
.LBB6_113:                              ;   in Loop: Header=BB6_49 Depth=1
	s_and_not1_saveexec_b32 s21, s21
	s_cbranch_execz .LBB6_115
; %bb.114:                              ;   in Loop: Header=BB6_49 Depth=1
	global_wb scope:SCOPE_DEV
	s_wait_storecnt 0x0
	s_wait_loadcnt_dscnt 0x0
	global_inv scope:SCOPE_DEV
	s_barrier_signal -1
	s_barrier_wait -1
.LBB6_115:                              ;   in Loop: Header=BB6_49 Depth=1
	s_or_b32 exec_lo, exec_lo, s21
.LBB6_116:                              ;   in Loop: Header=BB6_49 Depth=1
	s_delay_alu instid0(SALU_CYCLE_1)
	s_or_b32 exec_lo, exec_lo, s7
	s_trap 2
	ds_load_b64 v[66:67], v0
	s_wait_dscnt 0x0
	v_cmp_eq_u64_e32 vcc_lo, 0, v[66:67]
	s_cbranch_vccnz .LBB6_124
; %bb.117:                              ;   in Loop: Header=BB6_49 Depth=1
	s_trap 2
	ds_load_b64 v[68:69], v0
	s_wait_dscnt 0x0
	v_cmp_eq_u64_e32 vcc_lo, 0, v[68:69]
	s_cbranch_vccnz .LBB6_124
; %bb.118:                              ;   in Loop: Header=BB6_49 Depth=1
	s_mov_b32 s7, -1
	s_and_saveexec_b32 s21, s5
	s_cbranch_execz .LBB6_120
; %bb.119:                              ;   in Loop: Header=BB6_49 Depth=1
	ds_load_b32 v32, v0 offset:720
	s_wait_dscnt 0x0
	v_and_b32_e32 v32, 15, v32
	s_delay_alu instid0(VALU_DEP_1)
	v_cmp_eq_u32_e32 vcc_lo, 0, v32
	s_or_not1_b32 s7, vcc_lo, exec_lo
.LBB6_120:                              ;   in Loop: Header=BB6_49 Depth=1
	s_or_b32 exec_lo, exec_lo, s21
	s_and_saveexec_b32 s21, s6
	s_cbranch_execz .LBB6_122
; %bb.121:                              ;   in Loop: Header=BB6_49 Depth=1
	ds_load_b32 v32, v0 offset:784
	s_wait_dscnt 0x0
	v_and_b32_e32 v32, 15, v32
	s_delay_alu instid0(VALU_DEP_1) | instskip(SKIP_3) | instid1(SALU_CYCLE_1)
	v_cmp_eq_u32_e32 vcc_lo, 0, v32
	s_and_b32 s22, s7, vcc_lo
	s_and_not1_b32 s7, s7, exec_lo
	s_and_b32 s22, s22, exec_lo
	s_or_b32 s7, s7, s22
.LBB6_122:                              ;   in Loop: Header=BB6_49 Depth=1
	s_or_b32 exec_lo, exec_lo, s21
	v_cmp_eq_u32_e32 vcc_lo, 0, v70
	s_xor_b32 s7, s7, -1
	s_mov_b32 s22, -1
	v_cndmask_b32_e64 v71, 0, 1, s7
	v_dual_mov_b32 v98, 0 :: v_dual_cndmask_b32 v32, 0, v65, vcc_lo
	s_delay_alu instid0(VALU_DEP_2) | instskip(NEXT) | instid1(VALU_DEP_2)
	v_cmp_ne_u32_e32 vcc_lo, 0, v71
	v_lshlrev_b32_e32 v97, 3, v32
	s_cbranch_vccz .LBB6_125
; %bb.123:                              ;   in Loop: Header=BB6_49 Depth=1
	v_dual_mov_b32 v99, v0 :: v_dual_mov_b32 v70, v85
	s_and_saveexec_b32 s7, s22
	s_cbranch_execnz .LBB6_138
	s_branch .LBB6_146
.LBB6_124:                              ;   in Loop: Header=BB6_49 Depth=1
	s_mov_b32 s7, 0
	s_and_saveexec_b32 s21, s2
	s_cbranch_execnz .LBB6_147
	s_branch .LBB6_165
.LBB6_125:                              ;   in Loop: Header=BB6_49 Depth=1
	v_lshrrev_b32_e32 v98, 8, v32
	s_mov_b32 s7, exec_lo
	s_delay_alu instid0(VALU_DEP_1) | instskip(NEXT) | instid1(VALU_DEP_1)
	v_sub_nc_u32_e32 v101, v98, v85
	v_cmpx_lt_i32_e32 0, v101
	s_cbranch_execz .LBB6_129
; %bb.126:                              ;   in Loop: Header=BB6_49 Depth=1
	s_trap 2
	ds_load_b64 v[80:81], v0
	v_add_nc_u64_e32 v[70:71], v[66:67], v[38:39]
	v_add_nc_u64_e32 v[82:83], v[68:69], v[38:39]
	s_mov_b32 s21, 0
	s_wait_dscnt 0x0
	v_add_nc_u64_e32 v[80:81], v[80:81], v[38:39]
.LBB6_127:                              ;   Parent Loop BB6_49 Depth=1
                                        ; =>  This Inner Loop Header: Depth=2
	global_load_b128 v[112:115], v[80:81], off th:TH_LOAD_NT
	s_clause 0x1
	global_load_b128 v[116:119], v[70:71], off th:TH_LOAD_NT
	global_load_b128 v[40:43], v[70:71], off offset:512 th:TH_LOAD_NT
	s_clause 0x1
	global_load_b128 v[44:47], v[80:81], off offset:512 th:TH_LOAD_NT
	global_load_b128 v[56:59], v[80:81], off offset:1024 th:TH_LOAD_NT
	s_clause 0x1
	global_load_b128 v[60:63], v[70:71], off offset:1024 th:TH_LOAD_NT
	global_load_b128 v[72:75], v[70:71], off offset:1536 th:TH_LOAD_NT
	;; [unrolled: 1-line block ×3, first 2 shown]
	v_sub_nc_u32_e32 v101, v101, v28
	s_wait_xcnt 0x1
	v_add_nc_u64_e32 v[70:71], v[70:71], v[34:35]
	s_wait_xcnt 0x0
	v_add_nc_u64_e32 v[80:81], v[80:81], v[34:35]
	v_cmp_gt_i32_e32 vcc_lo, 1, v101
	s_or_b32 s21, vcc_lo, s21
	s_wait_loadcnt 0x6
	v_mul_u64_e32 v[112:113], v[112:113], v[116:117]
	v_mul_u64_e32 v[114:115], v[114:115], v[118:119]
	s_wait_loadcnt 0x4
	v_mul_u64_e32 v[116:117], v[44:45], v[40:41]
	v_mul_u64_e32 v[118:119], v[46:47], v[42:43]
	;; [unrolled: 3-line block ×4, first 2 shown]
	s_clause 0x3
	global_store_b128 v[82:83], v[112:115], off th:TH_STORE_NT
	global_store_b128 v[82:83], v[116:119], off offset:512 th:TH_STORE_NT
	global_store_b128 v[82:83], v[40:43], off offset:1024 th:TH_STORE_NT
	global_store_b128 v[82:83], v[44:47], off offset:1536 th:TH_STORE_NT
	s_wait_xcnt 0x0
	v_add_nc_u64_e32 v[82:83], v[82:83], v[34:35]
	s_and_not1_b32 exec_lo, exec_lo, s21
	s_cbranch_execnz .LBB6_127
; %bb.128:                              ;   in Loop: Header=BB6_49 Depth=1
	s_or_b32 exec_lo, exec_lo, s21
.LBB6_129:                              ;   in Loop: Header=BB6_49 Depth=1
	s_delay_alu instid0(SALU_CYCLE_1) | instskip(SKIP_3) | instid1(VALU_DEP_1)
	s_or_b32 exec_lo, exec_lo, s7
	v_dual_lshlrev_b32 v100, 11, v98 :: v_dual_mov_b32 v98, 0
	s_mov_b32 s22, 0
	s_mov_b32 s21, exec_lo
                                        ; implicit-def: $vgpr99
                                        ; implicit-def: $vgpr70
	v_cmpx_ne_u32_e64 v97, v100
	s_cbranch_execz .LBB6_137
; %bb.130:                              ;   in Loop: Header=BB6_49 Depth=1
	v_dual_lshlrev_b32 v70, 5, v101 :: v_dual_sub_nc_u32 v80, v97, v100
	s_mov_b32 s22, exec_lo
	s_delay_alu instid0(VALU_DEP_1) | instskip(NEXT) | instid1(VALU_DEP_1)
	v_dual_sub_nc_u32 v70, v86, v70 :: v_dual_ashrrev_i32 v81, 31, v80
	v_dual_ashrrev_i32 v71, 31, v70 :: v_dual_lshrrev_b32 v81, 23, v81
	s_delay_alu instid0(VALU_DEP_1) | instskip(NEXT) | instid1(VALU_DEP_1)
	v_lshrrev_b32_e32 v71, 27, v71
	v_add_nc_u32_e32 v71, v70, v71
	s_delay_alu instid0(VALU_DEP_1) | instskip(NEXT) | instid1(VALU_DEP_1)
	v_and_b32_e32 v82, 0xffffffe0, v71
	v_dual_add_nc_u32 v81, v80, v81 :: v_dual_sub_nc_u32 v102, v70, v82
	s_delay_alu instid0(VALU_DEP_1) | instskip(SKIP_1) | instid1(VALU_DEP_3)
	v_and_b32_e32 v101, 0xfffffe00, v81
	v_dual_ashrrev_i32 v71, 5, v71 :: v_dual_ashrrev_i32 v81, 9, v81
	v_lshlrev_b32_e32 v70, 4, v102
	s_delay_alu instid0(VALU_DEP_1) | instskip(NEXT) | instid1(VALU_DEP_1)
	v_lshl_add_u32 v70, v71, 9, v70
	v_dual_sub_nc_u32 v103, v80, v101 :: v_dual_sub_nc_u32 v98, v80, v70
	s_delay_alu instid0(VALU_DEP_1) | instskip(SKIP_1) | instid1(VALU_DEP_1)
	v_cmp_lt_i32_e32 vcc_lo, 15, v103
	v_add_co_ci_u32_e64 v81, null, 0, v81, vcc_lo
	v_sub_nc_u32_e32 v112, v81, v71
	s_delay_alu instid0(VALU_DEP_4)
	v_cmpx_lt_i32_e32 15, v98
	s_cbranch_execz .LBB6_134
; %bb.131:                              ;   in Loop: Header=BB6_49 Depth=1
	s_trap 2
	ds_load_b64 v[80:81], v0
	v_add_nc_u32_e32 v82, v70, v100
	s_mov_b32 s23, 0
	s_delay_alu instid0(VALU_DEP_1) | instskip(NEXT) | instid1(VALU_DEP_1)
	v_ashrrev_i32_e32 v83, 31, v82
	v_add_nc_u64_e32 v[70:71], v[82:83], v[66:67]
	s_wait_dscnt 0x0
	v_add_nc_u64_e32 v[80:81], v[80:81], v[82:83]
	v_add_nc_u64_e32 v[82:83], v[82:83], v[68:69]
.LBB6_132:                              ;   Parent Loop BB6_49 Depth=1
                                        ; =>  This Inner Loop Header: Depth=2
	global_load_b128 v[114:117], v[70:71], off th:TH_LOAD_NT
	global_load_b128 v[40:43], v[80:81], off th:TH_LOAD_NT
	v_sub_nc_u32_e32 v98, v98, v36
	s_wait_xcnt 0x1
	v_add_nc_u64_e32 v[70:71], v[70:71], v[36:37]
	s_wait_xcnt 0x0
	v_add_nc_u64_e32 v[80:81], v[80:81], v[36:37]
	v_sub_nc_u32_e32 v112, v112, v28
	v_cmp_gt_i32_e64 s7, 16, v98
	s_or_b32 s23, s7, s23
	s_wait_loadcnt 0x0
	v_mul_u64_e32 v[114:115], v[40:41], v[114:115]
	v_mul_u64_e32 v[116:117], v[42:43], v[116:117]
	global_store_b128 v[82:83], v[114:117], off th:TH_STORE_NT
	s_wait_xcnt 0x0
	v_add_nc_u64_e32 v[82:83], v[82:83], v[36:37]
	s_and_not1_b32 exec_lo, exec_lo, s23
	s_cbranch_execnz .LBB6_132
; %bb.133:                              ;   in Loop: Header=BB6_49 Depth=1
	s_or_b32 exec_lo, exec_lo, s23
.LBB6_134:                              ;   in Loop: Header=BB6_49 Depth=1
	s_delay_alu instid0(SALU_CYCLE_1) | instskip(SKIP_3) | instid1(VALU_DEP_1)
	s_or_b32 exec_lo, exec_lo, s22
	v_dual_mov_b32 v98, 0 :: v_dual_bitop2_b32 v71, 8, v97 bitop3:0x40
	s_mov_b32 s22, 0
	s_mov_b32 s23, exec_lo
                                        ; implicit-def: $vgpr99
                                        ; implicit-def: $vgpr70
	v_cndmask_b32_e32 v97, v103, v71, vcc_lo
	s_delay_alu instid0(VALU_DEP_1)
	v_cmpx_ne_u32_e32 0, v97
	s_cbranch_execz .LBB6_136
; %bb.135:                              ;   in Loop: Header=BB6_49 Depth=1
	v_cmp_lt_i32_e64 s7, 0, v112
	s_mov_b32 s22, exec_lo
	v_dual_sub_nc_u32 v71, v103, v71 :: v_dual_cndmask_b32 v70, 0, v28, s7
	s_delay_alu instid0(VALU_DEP_1) | instskip(NEXT) | instid1(VALU_DEP_1)
	v_dual_cndmask_b32 v71, 0, v71 :: v_dual_sub_nc_u32 v70, v70, v112
	v_add3_u32 v98, v101, v100, v71
	s_delay_alu instid0(VALU_DEP_2) | instskip(NEXT) | instid1(VALU_DEP_1)
	v_lshl_add_u32 v99, v70, 5, v102
	v_ashrrev_i32_e32 v70, 31, v99
	s_delay_alu instid0(VALU_DEP_1) | instskip(NEXT) | instid1(VALU_DEP_1)
	v_lshrrev_b32_e32 v70, 27, v70
	v_add_nc_u32_e32 v70, v99, v70
	s_delay_alu instid0(VALU_DEP_1)
	v_ashrrev_i32_e32 v70, 5, v70
.LBB6_136:                              ;   in Loop: Header=BB6_49 Depth=1
	s_or_b32 exec_lo, exec_lo, s23
	s_delay_alu instid0(SALU_CYCLE_1)
	s_and_b32 s22, s22, exec_lo
.LBB6_137:                              ;   in Loop: Header=BB6_49 Depth=1
	s_or_b32 exec_lo, exec_lo, s21
	s_and_saveexec_b32 s7, s22
	s_cbranch_execz .LBB6_146
.LBB6_138:                              ;   in Loop: Header=BB6_49 Depth=1
	v_ashrrev_i32_e32 v71, 31, v97
	s_mov_b32 s21, exec_lo
	s_delay_alu instid0(VALU_DEP_1) | instskip(NEXT) | instid1(VALU_DEP_1)
	v_lshrrev_b32_e32 v71, 22, v71
	v_add_nc_u32_e32 v71, v97, v71
	s_delay_alu instid0(VALU_DEP_1) | instskip(SKIP_1) | instid1(VALU_DEP_1)
	v_ashrrev_i32_e32 v102, 10, v71
	v_ashrrev_i32_e32 v71, 31, v99
	v_dual_lshrrev_b32 v101, 27, v71 :: v_dual_sub_nc_u32 v100, v102, v70
	s_delay_alu instid0(VALU_DEP_1)
	v_cmpx_lt_i32_e32 0, v100
	s_cbranch_execz .LBB6_142
; %bb.139:                              ;   in Loop: Header=BB6_49 Depth=1
	s_delay_alu instid0(VALU_DEP_2) | instskip(SKIP_4) | instid1(VALU_DEP_1)
	v_dual_add_nc_u32 v71, v99, v101 :: v_dual_lshlrev_b32 v70, 10, v70
	s_trap 2
	ds_load_b64 v[80:81], v0
	s_mov_b32 s22, 0
	v_and_b32_e32 v71, 0x1fffffe0, v71
	v_sub_nc_u32_e32 v71, v99, v71
	s_delay_alu instid0(VALU_DEP_1) | instskip(NEXT) | instid1(VALU_DEP_1)
	v_lshlrev_b32_e32 v71, 3, v71
	v_add3_u32 v82, v71, v98, v70
	s_delay_alu instid0(VALU_DEP_1) | instskip(NEXT) | instid1(VALU_DEP_1)
	v_ashrrev_i32_e32 v83, 31, v82
	v_add_nc_u64_e32 v[70:71], v[82:83], v[66:67]
	s_wait_dscnt 0x0
	v_add_nc_u64_e32 v[80:81], v[80:81], v[82:83]
	v_add_nc_u64_e32 v[82:83], v[82:83], v[68:69]
.LBB6_140:                              ;   Parent Loop BB6_49 Depth=1
                                        ; =>  This Inner Loop Header: Depth=2
	s_clause 0x3
	flat_load_b64 v[112:113], v[70:71] th:TH_LOAD_NT
	flat_load_b64 v[114:115], v[70:71] offset:256 th:TH_LOAD_NT
	flat_load_b64 v[116:117], v[70:71] offset:512 th:TH_LOAD_NT
	;; [unrolled: 1-line block ×3, first 2 shown]
	s_clause 0x3
	flat_load_b64 v[40:41], v[80:81] th:TH_LOAD_NT
	flat_load_b64 v[42:43], v[80:81] offset:256 th:TH_LOAD_NT
	flat_load_b64 v[44:45], v[80:81] offset:512 th:TH_LOAD_NT
	;; [unrolled: 1-line block ×3, first 2 shown]
	v_sub_nc_u32_e32 v100, v100, v28
	s_wait_xcnt 0x4
	v_add_nc_u64_e32 v[70:71], v[70:71], v[48:49]
	s_wait_xcnt 0x0
	v_add_nc_u64_e32 v[80:81], v[80:81], v[48:49]
	v_cmp_gt_i32_e32 vcc_lo, 1, v100
	s_or_b32 s22, vcc_lo, s22
	s_wait_loadcnt_dscnt 0x303
	v_mul_u64_e32 v[112:113], v[40:41], v[112:113]
	s_wait_loadcnt_dscnt 0x202
	v_mul_u64_e32 v[114:115], v[42:43], v[114:115]
	s_wait_loadcnt_dscnt 0x101
	v_mul_u64_e32 v[116:117], v[44:45], v[116:117]
	s_wait_loadcnt_dscnt 0x0
	v_mul_u64_e32 v[118:119], v[46:47], v[118:119]
	s_clause 0x3
	flat_store_b64 v[82:83], v[112:113] th:TH_STORE_NT
	flat_store_b64 v[82:83], v[114:115] offset:256 th:TH_STORE_NT
	flat_store_b64 v[82:83], v[116:117] offset:512 th:TH_STORE_NT
	;; [unrolled: 1-line block ×3, first 2 shown]
	s_wait_xcnt 0x0
	v_add_nc_u64_e32 v[82:83], v[82:83], v[48:49]
	s_and_not1_b32 exec_lo, exec_lo, s22
	s_cbranch_execnz .LBB6_140
; %bb.141:                              ;   in Loop: Header=BB6_49 Depth=1
	s_or_b32 exec_lo, exec_lo, s22
.LBB6_142:                              ;   in Loop: Header=BB6_49 Depth=1
	s_delay_alu instid0(SALU_CYCLE_1) | instskip(SKIP_1) | instid1(VALU_DEP_1)
	s_or_b32 exec_lo, exec_lo, s21
	v_lshlrev_b32_e32 v70, 10, v102
	v_cmp_ne_u32_e32 vcc_lo, v97, v70
	s_and_b32 exec_lo, exec_lo, vcc_lo
	s_cbranch_execz .LBB6_146
; %bb.143:                              ;   in Loop: Header=BB6_49 Depth=1
	v_dual_add_nc_u32 v71, v99, v101 :: v_dual_lshlrev_b32 v80, 5, v100
	s_delay_alu instid0(VALU_DEP_1) | instskip(NEXT) | instid1(VALU_DEP_1)
	v_and_b32_e32 v71, 0xffffffe0, v71
	v_sub_nc_u32_e32 v71, v99, v71
	s_delay_alu instid0(VALU_DEP_1) | instskip(NEXT) | instid1(VALU_DEP_1)
	v_sub_nc_u32_e32 v71, v71, v80
	v_ashrrev_i32_e32 v80, 31, v71
	s_delay_alu instid0(VALU_DEP_1) | instskip(NEXT) | instid1(VALU_DEP_1)
	v_lshrrev_b32_e32 v80, 27, v80
	v_add_nc_u32_e32 v80, v71, v80
	s_delay_alu instid0(VALU_DEP_1) | instskip(NEXT) | instid1(VALU_DEP_1)
	v_and_b32_e32 v81, 0x1fffffe0, v80
	v_dual_lshlrev_b32 v80, 3, v80 :: v_dual_sub_nc_u32 v71, v71, v81
	s_delay_alu instid0(VALU_DEP_1) | instskip(NEXT) | instid1(VALU_DEP_2)
	v_and_b32_e32 v80, 0xffffff00, v80
	v_lshlrev_b32_e32 v71, 3, v71
	s_delay_alu instid0(VALU_DEP_1) | instskip(NEXT) | instid1(VALU_DEP_1)
	v_add3_u32 v70, v80, v71, v70
	v_sub_nc_u32_e32 v80, v97, v70
	s_delay_alu instid0(VALU_DEP_1)
	v_cmp_lt_i32_e32 vcc_lo, 7, v80
	s_and_b32 exec_lo, exec_lo, vcc_lo
	s_cbranch_execz .LBB6_146
; %bb.144:                              ;   in Loop: Header=BB6_49 Depth=1
	s_trap 2
	ds_load_b64 v[82:83], v0
	v_add_nc_u32_e32 v98, v70, v98
	s_mov_b32 s21, 0
	s_delay_alu instid0(VALU_DEP_1) | instskip(NEXT) | instid1(VALU_DEP_1)
	v_ashrrev_i32_e32 v99, 31, v98
	v_add_nc_u64_e32 v[66:67], v[98:99], v[66:67]
	v_add_nc_u64_e32 v[68:69], v[98:99], v[68:69]
	s_wait_dscnt 0x0
	v_add_nc_u64_e32 v[70:71], v[82:83], v[98:99]
.LBB6_145:                              ;   Parent Loop BB6_49 Depth=1
                                        ; =>  This Inner Loop Header: Depth=2
	flat_load_b64 v[82:83], v[66:67] th:TH_LOAD_NT
	flat_load_b64 v[98:99], v[70:71] th:TH_LOAD_NT
	v_sub_nc_u32_e32 v80, v80, v50
	s_wait_xcnt 0x1
	v_add_nc_u64_e32 v[66:67], v[66:67], v[50:51]
	s_wait_xcnt 0x0
	v_add_nc_u64_e32 v[70:71], v[70:71], v[50:51]
	v_cmp_gt_i32_e32 vcc_lo, 8, v80
	s_or_b32 s21, vcc_lo, s21
	s_wait_loadcnt_dscnt 0x0
	v_mul_u64_e32 v[82:83], v[98:99], v[82:83]
	flat_store_b64 v[68:69], v[82:83] th:TH_STORE_NT
	s_wait_xcnt 0x0
	v_add_nc_u64_e32 v[68:69], v[68:69], v[50:51]
	s_and_not1_b32 exec_lo, exec_lo, s21
	s_cbranch_execnz .LBB6_145
.LBB6_146:                              ;   in Loop: Header=BB6_49 Depth=1
	s_or_b32 exec_lo, exec_lo, s7
	v_cmp_ne_u32_e64 s7, 0, v32
	s_and_saveexec_b32 s21, s2
	s_cbranch_execz .LBB6_165
.LBB6_147:                              ;   in Loop: Header=BB6_49 Depth=1
	s_and_saveexec_b32 s22, s3
	s_delay_alu instid0(SALU_CYCLE_1)
	s_xor_b32 s22, exec_lo, s22
	s_cbranch_execz .LBB6_162
; %bb.148:                              ;   in Loop: Header=BB6_49 Depth=1
	s_and_saveexec_b32 s23, s4
	s_cbranch_execz .LBB6_161
; %bb.149:                              ;   in Loop: Header=BB6_49 Depth=1
	s_mov_b32 s25, exec_lo
	s_mov_b32 s24, exec_lo
	v_mbcnt_lo_u32_b32 v32, s25, 0
	global_wb scope:SCOPE_DEV
	s_wait_storecnt 0x0
	s_wait_loadcnt_dscnt 0x0
	global_inv scope:SCOPE_DEV
	v_cmpx_eq_u32_e32 0, v32
	s_cbranch_execz .LBB6_151
; %bb.150:                              ;   in Loop: Header=BB6_49 Depth=1
	s_bcnt1_i32_b32 s25, s25
	s_delay_alu instid0(SALU_CYCLE_1)
	v_mov_b32_e32 v32, s25
	s_wait_loadcnt 0x0
	ds_add_u64 v0, v[32:33]
	s_trap 2
.LBB6_151:                              ;   in Loop: Header=BB6_49 Depth=1
	s_or_b32 exec_lo, exec_lo, s24
	s_trap 2
	ds_load_b64 v[66:67], v0
	s_wait_dscnt 0x0
	v_add_nc_u64_e32 v[10:11], v[10:11], v[28:29]
	s_mov_b32 s24, exec_lo
	s_delay_alu instid0(VALU_DEP_1)
	v_cmpx_lt_u64_e64 v[66:67], v[10:11]
	s_cbranch_execz .LBB6_160
; %bb.152:                              ;   in Loop: Header=BB6_49 Depth=1
	s_mov_b32 s25, 0
	s_mov_b32 s28, 0
                                        ; implicit-def: $sgpr26
                                        ; implicit-def: $sgpr27
	s_branch .LBB6_154
.LBB6_153:                              ;   in Loop: Header=BB6_154 Depth=2
	s_or_b32 exec_lo, exec_lo, s40
	s_delay_alu instid0(SALU_CYCLE_1) | instskip(NEXT) | instid1(SALU_CYCLE_1)
	s_and_b32 s29, exec_lo, s41
	s_or_b32 s25, s29, s25
	s_and_not1_b32 s26, s26, exec_lo
	s_and_b32 s29, s27, exec_lo
	s_delay_alu instid0(SALU_CYCLE_1)
	s_or_b32 s26, s26, s29
	s_and_not1_b32 exec_lo, exec_lo, s25
	s_cbranch_execz .LBB6_158
.LBB6_154:                              ;   Parent Loop BB6_49 Depth=1
                                        ; =>  This Inner Loop Header: Depth=2
	s_add_co_i32 s28, s28, 1
	s_delay_alu instid0(SALU_CYCLE_1) | instskip(SKIP_1) | instid1(SALU_CYCLE_1)
	s_cmp_lg_u32 s28, 0x2710
	s_cselect_b32 s29, -1, 0
	s_and_b32 vcc_lo, exec_lo, s29
	s_cbranch_vccz .LBB6_156
; %bb.155:                              ;   in Loop: Header=BB6_154 Depth=2
	s_mov_b32 s41, -1
	s_or_b32 s27, s27, exec_lo
	s_and_saveexec_b32 s40, s29
	s_cbranch_execz .LBB6_153
	s_branch .LBB6_157
.LBB6_156:                              ;   in Loop: Header=BB6_154 Depth=2
	s_trap 2
	ds_load_b64 v[66:67], v0
	s_and_not1_b32 s29, s29, exec_lo
	s_mov_b32 s28, 0
	s_wait_loadcnt_dscnt 0x0
	flat_load_b32 v32, v[66:67] scope:SCOPE_SYS
	s_wait_loadcnt_dscnt 0x0
	global_inv scope:SCOPE_SYS
	v_cmp_eq_u32_e32 vcc_lo, 0, v32
	s_and_b32 s40, vcc_lo, exec_lo
	s_delay_alu instid0(SALU_CYCLE_1)
	s_or_b32 s29, s29, s40
	s_mov_b32 s41, -1
	s_or_b32 s27, s27, exec_lo
	s_and_saveexec_b32 s40, s29
	s_cbranch_execz .LBB6_153
.LBB6_157:                              ;   in Loop: Header=BB6_154 Depth=2
	s_sleep 1
	s_trap 2
	ds_load_b64 v[66:67], v0
	s_wait_dscnt 0x0
	s_and_not1_b32 s27, s27, exec_lo
	v_cmp_ge_u64_e32 vcc_lo, v[66:67], v[10:11]
	s_or_not1_b32 s41, vcc_lo, exec_lo
	s_branch .LBB6_153
.LBB6_158:                              ;   in Loop: Header=BB6_49 Depth=1
	s_or_b32 exec_lo, exec_lo, s25
	s_and_saveexec_b32 s25, s26
	s_delay_alu instid0(SALU_CYCLE_1)
	s_xor_b32 s25, exec_lo, s25
	s_cbranch_execz .LBB6_160
; %bb.159:                              ;   in Loop: Header=BB6_49 Depth=1
	ds_store_b32 v0, v87
	s_trap 2
.LBB6_160:                              ;   in Loop: Header=BB6_49 Depth=1
	s_or_b32 exec_lo, exec_lo, s24
	;;#ASMSTART
	s_wakeup
	;;#ASMEND
.LBB6_161:                              ;   in Loop: Header=BB6_49 Depth=1
	s_or_b32 exec_lo, exec_lo, s23
.LBB6_162:                              ;   in Loop: Header=BB6_49 Depth=1
	s_and_not1_saveexec_b32 s22, s22
	s_cbranch_execz .LBB6_164
; %bb.163:                              ;   in Loop: Header=BB6_49 Depth=1
	global_wb scope:SCOPE_DEV
	s_wait_storecnt 0x0
	s_wait_loadcnt_dscnt 0x0
	global_inv scope:SCOPE_DEV
	s_barrier_signal -1
	s_barrier_wait -1
.LBB6_164:                              ;   in Loop: Header=BB6_49 Depth=1
	s_or_b32 exec_lo, exec_lo, s22
.LBB6_165:                              ;   in Loop: Header=BB6_49 Depth=1
	s_delay_alu instid0(SALU_CYCLE_1) | instskip(SKIP_1) | instid1(VALU_DEP_1)
	s_or_b32 exec_lo, exec_lo, s21
	v_and_b32_e32 v32, 16, v30
	v_cmp_ne_u32_e32 vcc_lo, 0, v32
	s_and_b32 s21, vcc_lo, s7
	s_delay_alu instid0(SALU_CYCLE_1)
	s_and_saveexec_b32 s7, s21
	s_cbranch_execz .LBB6_167
; %bb.166:                              ;   in Loop: Header=BB6_49 Depth=1
	global_wb scope:SCOPE_SYS
	s_wait_storecnt 0x0
	s_wait_loadcnt_dscnt 0x0
	global_inv scope:SCOPE_SYS
.LBB6_167:                              ;   in Loop: Header=BB6_49 Depth=1
	s_or_b32 exec_lo, exec_lo, s7
	v_cmp_ne_u32_e32 vcc_lo, 0, v32
	s_and_b32 s21, vcc_lo, s18
	s_delay_alu instid0(SALU_CYCLE_1)
	s_and_saveexec_b32 s7, s21
	s_cbranch_execz .LBB6_169
; %bb.168:                              ;   in Loop: Header=BB6_49 Depth=1
	global_wb scope:SCOPE_SYS
	s_wait_storecnt 0x0
	s_wait_loadcnt_dscnt 0x0
	flat_store_b32 v[26:27], v87 scope:SCOPE_SYS
.LBB6_169:                              ;   in Loop: Header=BB6_49 Depth=1
	s_wait_xcnt 0x0
	s_or_b32 exec_lo, exec_lo, s7
	v_and_b32_e32 v32, 48, v30
	s_mov_b32 s7, exec_lo
	s_delay_alu instid0(VALU_DEP_1)
	v_cmpx_ne_u32_e32 0, v32
	s_cbranch_execz .LBB6_171
; %bb.170:                              ;   in Loop: Header=BB6_49 Depth=1
	v_add_nc_u64_e32 v[8:9], 1, v[8:9]
	global_wb scope:SCOPE_SYS
	s_wait_storecnt 0x0
	s_wait_loadcnt_dscnt 0x0
	flat_store_b64 v[18:19], v[8:9] scope:SCOPE_SYS
.LBB6_171:                              ;   in Loop: Header=BB6_49 Depth=1
	s_wait_xcnt 0x0
	s_or_b32 exec_lo, exec_lo, s7
	v_mov_b32_e32 v32, v65
.LBB6_172:                              ;   in Loop: Header=BB6_49 Depth=1
	s_or_b32 exec_lo, exec_lo, s20
	s_and_saveexec_b32 s20, s19
	s_cbranch_execz .LBB6_48
; %bb.173:                              ;   in Loop: Header=BB6_49 Depth=1
	s_delay_alu instid0(VALU_DEP_1) | instskip(SKIP_1) | instid1(VALU_DEP_1)
	v_dual_sub_nc_u32 v32, v64, v32 :: v_dual_bitop2_b32 v66, 12, v30 bitop3:0x40
	s_mov_b32 s19, exec_lo
	v_min_i32_e32 v64, v65, v32
	s_delay_alu instid0(VALU_DEP_2)
	v_cmpx_ne_u32_e32 0, v66
	s_cbranch_execz .LBB6_199
; %bb.174:                              ;   in Loop: Header=BB6_49 Depth=1
	v_and_b32_e32 v32, 8, v30
	v_add_nc_u64_e32 v[66:67], 1, v[8:9]
	s_mov_b32 s21, exec_lo
	s_wait_loadcnt 0x0
	s_delay_alu instid0(VALU_DEP_2) | instskip(NEXT) | instid1(VALU_DEP_1)
	v_add_nc_u64_e32 v[68:69], v[24:25], v[32:33]
	v_cmpx_lt_u64_e64 v[68:69], v[66:67]
	s_cbranch_execz .LBB6_186
; %bb.175:                              ;   in Loop: Header=BB6_49 Depth=1
	v_and_b32_e32 v9, 64, v30
	s_mov_b32 s22, 0
	s_mov_b32 s26, 0
                                        ; implicit-def: $sgpr23
                                        ; implicit-def: $sgpr24
                                        ; implicit-def: $sgpr25
	s_delay_alu instid0(VALU_DEP_1)
	v_cmp_eq_u32_e32 vcc_lo, 0, v9
	s_branch .LBB6_179
.LBB6_176:                              ;   in Loop: Header=BB6_179 Depth=2
	s_wait_loadcnt_dscnt 0x0
	v_add_nc_u64_e32 v[68:69], v[24:25], v[32:33]
	s_or_b32 s29, s29, exec_lo
	s_delay_alu instid0(VALU_DEP_1)
	v_cmp_ge_u64_e64 s7, v[68:69], v[66:67]
	s_or_not1_b32 s28, s7, exec_lo
.LBB6_177:                              ;   in Loop: Header=BB6_179 Depth=2
	s_or_b32 exec_lo, exec_lo, s41
	s_delay_alu instid0(SALU_CYCLE_1)
	s_and_not1_b32 s7, s25, exec_lo
	s_and_b32 s25, s29, exec_lo
	s_and_not1_b32 s24, s24, exec_lo
	s_and_b32 s28, s28, exec_lo
	s_or_b32 s25, s7, s25
	s_or_b32 s24, s24, s28
.LBB6_178:                              ;   in Loop: Header=BB6_179 Depth=2
	s_or_b32 exec_lo, exec_lo, s27
	s_delay_alu instid0(SALU_CYCLE_1) | instskip(NEXT) | instid1(SALU_CYCLE_1)
	s_and_b32 s7, exec_lo, s24
	s_or_b32 s22, s7, s22
	s_and_not1_b32 s7, s23, exec_lo
	s_and_b32 s23, s25, exec_lo
	s_delay_alu instid0(SALU_CYCLE_1)
	s_or_b32 s23, s7, s23
	s_and_not1_b32 exec_lo, exec_lo, s22
	s_cbranch_execz .LBB6_183
.LBB6_179:                              ;   Parent Loop BB6_49 Depth=1
                                        ; =>  This Inner Loop Header: Depth=2
	s_sleep 1
	s_wait_loadcnt_dscnt 0x0
	flat_load_b64 v[24:25], v[18:19] scope:SCOPE_SYS
	s_or_b32 s25, s25, exec_lo
	s_or_b32 s24, s24, exec_lo
                                        ; implicit-def: $vgpr9
	s_wait_xcnt 0x0
	s_and_saveexec_b32 s27, vcc_lo
	s_cbranch_execz .LBB6_178
; %bb.180:                              ;   in Loop: Header=BB6_179 Depth=2
	s_cmp_lt_i32 s26, 0x270f
	s_mov_b32 s28, -1
	s_cselect_b32 s40, -1, 0
	s_cmp_gt_i32 s26, 0x270e
	s_cbranch_scc0 .LBB6_182
; %bb.181:                              ;   in Loop: Header=BB6_179 Depth=2
	s_trap 2
	ds_load_b64 v[68:69], v0
	s_and_not1_b32 s26, s40, exec_lo
	s_mov_b32 s29, 0
	s_wait_storecnt 0x0
	s_wait_loadcnt_dscnt 0x0
	flat_load_b32 v9, v[68:69] scope:SCOPE_SYS
	s_wait_loadcnt_dscnt 0x0
	global_inv scope:SCOPE_SYS
	v_cmp_eq_u32_e64 s7, 0, v9
	s_and_b32 s7, s7, exec_lo
	s_delay_alu instid0(SALU_CYCLE_1)
	s_or_b32 s40, s26, s7
	s_mov_b32 s26, 0
	s_and_saveexec_b32 s41, s40
	s_cbranch_execz .LBB6_177
	s_branch .LBB6_176
.LBB6_182:                              ;   in Loop: Header=BB6_179 Depth=2
	s_add_co_i32 s26, s26, 1
	s_mov_b32 s29, -1
                                        ; implicit-def: $vgpr9
	s_and_saveexec_b32 s41, s40
	s_cbranch_execz .LBB6_177
	s_branch .LBB6_176
.LBB6_183:                              ;   in Loop: Header=BB6_49 Depth=1
	s_or_b32 exec_lo, exec_lo, s22
	s_xor_b32 s7, s23, -1
	s_delay_alu instid0(SALU_CYCLE_1) | instskip(NEXT) | instid1(SALU_CYCLE_1)
	s_and_saveexec_b32 s22, s7
	s_xor_b32 s7, exec_lo, s22
	s_cbranch_execz .LBB6_185
; %bb.184:                              ;   in Loop: Header=BB6_49 Depth=1
	v_or_b32_e32 v30, 64, v30
	s_wait_storecnt 0x0
	s_wait_loadcnt_dscnt 0x0
	ds_store_b32 v0, v9
	s_trap 2
.LBB6_185:                              ;   in Loop: Header=BB6_49 Depth=1
	s_or_b32 exec_lo, exec_lo, s7
.LBB6_186:                              ;   in Loop: Header=BB6_49 Depth=1
	s_delay_alu instid0(SALU_CYCLE_1) | instskip(SKIP_2) | instid1(VALU_DEP_1)
	s_or_b32 exec_lo, exec_lo, s21
	v_and_b32_e32 v9, 0x108, v30
	;;#ASMSTART
	s_wakeup
	;;#ASMEND
	v_cmp_ne_u32_e32 vcc_lo, 0x108, v9
	v_and_b32_e32 v8, 7, v8
	s_and_saveexec_b32 s7, vcc_lo
	s_delay_alu instid0(SALU_CYCLE_1)
	s_xor_b32 s7, exec_lo, s7
; %bb.187:                              ;   in Loop: Header=BB6_49 Depth=1
	v_mov_b32_e32 v9, v33
; %bb.188:                              ;   in Loop: Header=BB6_49 Depth=1
	s_and_not1_saveexec_b32 s7, s7
	s_cbranch_execz .LBB6_190
; %bb.189:                              ;   in Loop: Header=BB6_49 Depth=1
	v_dual_ashrrev_i32 v65, 31, v64 :: v_dual_mov_b32 v9, v33
	v_mad_nc_u64_u32 v[68:69], v8, 24, v[6:7]
	s_delay_alu instid0(VALU_DEP_2)
	v_lshlrev_b64_e32 v[70:71], 3, v[64:65]
	flat_store_b64 v[68:69], v[70:71] offset:8
.LBB6_190:                              ;   in Loop: Header=BB6_49 Depth=1
	s_wait_xcnt 0x0
	s_or_b32 exec_lo, exec_lo, s7
	v_and_b32_e32 v65, 0x100, v30
	s_mov_b32 s7, -1
	s_mov_b32 s21, exec_lo
                                        ; implicit-def: $vgpr68_vgpr69
	s_delay_alu instid0(VALU_DEP_1)
	v_cmpx_ne_u32_e32 0, v65
	s_cbranch_execz .LBB6_194
; %bb.191:                              ;   in Loop: Header=BB6_49 Depth=1
	v_mad_nc_u64_u32 v[70:71], v8, 24, v[6:7]
	s_mov_b32 s22, exec_lo
                                        ; implicit-def: $vgpr68_vgpr69
	s_delay_alu instid0(VALU_DEP_1)
	v_mad_u32 v71, v9, 24, v71
	flat_load_b32 v65, v[70:71]
	s_wait_loadcnt_dscnt 0x0
	v_cmp_ne_u32_e32 vcc_lo, 1, v65
	s_wait_xcnt 0x0
	v_cmpx_eq_u32_e32 1, v65
	s_cbranch_execz .LBB6_193
; %bb.192:                              ;   in Loop: Header=BB6_49 Depth=1
	flat_load_b32 v68, v[70:71] offset:4 scope:SCOPE_SYS
	s_wait_loadcnt_dscnt 0x0
	v_ashrrev_i32_e32 v69, 31, v68
	s_delay_alu instid0(VALU_DEP_1)
	v_lshrrev_b64 v[68:69], 3, v[68:69]
.LBB6_193:                              ;   in Loop: Header=BB6_49 Depth=1
	s_wait_xcnt 0x0
	s_or_b32 exec_lo, exec_lo, s22
	s_delay_alu instid0(SALU_CYCLE_1)
	s_or_not1_b32 s7, vcc_lo, exec_lo
.LBB6_194:                              ;   in Loop: Header=BB6_49 Depth=1
	s_or_b32 exec_lo, exec_lo, s21
	s_and_saveexec_b32 s21, s7
; %bb.195:                              ;   in Loop: Header=BB6_49 Depth=1
	v_mul_u64_e32 v[68:69], v[8:9], v[20:21]
; %bb.196:                              ;   in Loop: Header=BB6_49 Depth=1
	s_or_b32 exec_lo, exec_lo, s21
	v_cmp_eq_u32_e32 vcc_lo, 0, v32
	v_and_b32_e32 v65, 0x2000, v30
	s_delay_alu instid0(VALU_DEP_3) | instskip(SKIP_2) | instid1(VALU_DEP_1)
	v_lshl_add_u64 v[8:9], v[68:69], 3, v[22:23]
	s_mov_b32 s7, exec_lo
	v_cndmask_b32_e32 v32, 0xc8, v96, vcc_lo
	v_add_nc_u32_e32 v32, v0, v32
	ds_store_b64 v32, v[8:9] offset:584
	v_cmpx_ne_u32_e32 0, v65
	s_cbranch_execz .LBB6_198
; %bb.197:                              ;   in Loop: Header=BB6_49 Depth=1
	ds_load_b64 v[8:9], v0 offset:872
	s_wait_dscnt 0x0
	v_add_nc_u64_e32 v[8:9], 1, v[8:9]
	ds_store_b64 v0, v[8:9] offset:872
.LBB6_198:                              ;   in Loop: Header=BB6_49 Depth=1
	s_or_b32 exec_lo, exec_lo, s7
	v_mov_b64_e32 v[8:9], v[66:67]
.LBB6_199:                              ;   in Loop: Header=BB6_49 Depth=1
	s_or_b32 exec_lo, exec_lo, s19
	s_and_saveexec_b32 s7, s2
	s_cbranch_execz .LBB6_218
; %bb.200:                              ;   in Loop: Header=BB6_49 Depth=1
	s_and_saveexec_b32 s19, s3
	s_delay_alu instid0(SALU_CYCLE_1)
	s_xor_b32 s19, exec_lo, s19
	s_cbranch_execz .LBB6_215
; %bb.201:                              ;   in Loop: Header=BB6_49 Depth=1
	s_and_saveexec_b32 s21, s4
	s_cbranch_execz .LBB6_214
; %bb.202:                              ;   in Loop: Header=BB6_49 Depth=1
	s_mov_b32 s23, exec_lo
	s_mov_b32 s22, exec_lo
	v_mbcnt_lo_u32_b32 v32, s23, 0
	global_wb scope:SCOPE_DEV
	s_wait_storecnt 0x0
	s_wait_loadcnt_dscnt 0x0
	global_inv scope:SCOPE_DEV
	v_cmpx_eq_u32_e32 0, v32
	s_cbranch_execz .LBB6_204
; %bb.203:                              ;   in Loop: Header=BB6_49 Depth=1
	s_bcnt1_i32_b32 s23, s23
	s_delay_alu instid0(SALU_CYCLE_1)
	v_mov_b32_e32 v32, s23
	s_wait_loadcnt 0x0
	ds_add_u64 v0, v[32:33]
	s_trap 2
.LBB6_204:                              ;   in Loop: Header=BB6_49 Depth=1
	s_or_b32 exec_lo, exec_lo, s22
	s_trap 2
	ds_load_b64 v[66:67], v0
	s_wait_dscnt 0x0
	v_add_nc_u64_e32 v[10:11], v[10:11], v[28:29]
	s_mov_b32 s22, exec_lo
	s_delay_alu instid0(VALU_DEP_1)
	v_cmpx_lt_u64_e64 v[66:67], v[10:11]
	s_cbranch_execz .LBB6_213
; %bb.205:                              ;   in Loop: Header=BB6_49 Depth=1
	s_mov_b32 s23, 0
	s_mov_b32 s26, 0
                                        ; implicit-def: $sgpr24
                                        ; implicit-def: $sgpr25
	s_branch .LBB6_207
.LBB6_206:                              ;   in Loop: Header=BB6_207 Depth=2
	s_or_b32 exec_lo, exec_lo, s28
	s_delay_alu instid0(SALU_CYCLE_1) | instskip(NEXT) | instid1(SALU_CYCLE_1)
	s_and_b32 s27, exec_lo, s29
	s_or_b32 s23, s27, s23
	s_and_not1_b32 s24, s24, exec_lo
	s_and_b32 s27, s25, exec_lo
	s_delay_alu instid0(SALU_CYCLE_1)
	s_or_b32 s24, s24, s27
	s_and_not1_b32 exec_lo, exec_lo, s23
	s_cbranch_execz .LBB6_211
.LBB6_207:                              ;   Parent Loop BB6_49 Depth=1
                                        ; =>  This Inner Loop Header: Depth=2
	s_add_co_i32 s26, s26, 1
	s_delay_alu instid0(SALU_CYCLE_1) | instskip(SKIP_1) | instid1(SALU_CYCLE_1)
	s_cmp_lg_u32 s26, 0x2710
	s_cselect_b32 s27, -1, 0
	s_and_b32 vcc_lo, exec_lo, s27
	s_cbranch_vccz .LBB6_209
; %bb.208:                              ;   in Loop: Header=BB6_207 Depth=2
	s_mov_b32 s29, -1
	s_or_b32 s25, s25, exec_lo
	s_and_saveexec_b32 s28, s27
	s_cbranch_execz .LBB6_206
	s_branch .LBB6_210
.LBB6_209:                              ;   in Loop: Header=BB6_207 Depth=2
	s_trap 2
	ds_load_b64 v[66:67], v0
	s_and_not1_b32 s27, s27, exec_lo
	s_mov_b32 s26, 0
	s_wait_loadcnt_dscnt 0x0
	flat_load_b32 v32, v[66:67] scope:SCOPE_SYS
	s_wait_loadcnt_dscnt 0x0
	global_inv scope:SCOPE_SYS
	v_cmp_eq_u32_e32 vcc_lo, 0, v32
	s_and_b32 s28, vcc_lo, exec_lo
	s_delay_alu instid0(SALU_CYCLE_1)
	s_or_b32 s27, s27, s28
	s_mov_b32 s29, -1
	s_or_b32 s25, s25, exec_lo
	s_and_saveexec_b32 s28, s27
	s_cbranch_execz .LBB6_206
.LBB6_210:                              ;   in Loop: Header=BB6_207 Depth=2
	s_sleep 1
	s_trap 2
	ds_load_b64 v[66:67], v0
	s_wait_dscnt 0x0
	s_and_not1_b32 s25, s25, exec_lo
	v_cmp_ge_u64_e32 vcc_lo, v[66:67], v[10:11]
	s_or_not1_b32 s29, vcc_lo, exec_lo
	s_branch .LBB6_206
.LBB6_211:                              ;   in Loop: Header=BB6_49 Depth=1
	s_or_b32 exec_lo, exec_lo, s23
	s_and_saveexec_b32 s23, s24
	s_delay_alu instid0(SALU_CYCLE_1)
	s_xor_b32 s23, exec_lo, s23
	s_cbranch_execz .LBB6_213
; %bb.212:                              ;   in Loop: Header=BB6_49 Depth=1
	ds_store_b32 v0, v87
	s_trap 2
.LBB6_213:                              ;   in Loop: Header=BB6_49 Depth=1
	s_or_b32 exec_lo, exec_lo, s22
	;;#ASMSTART
	s_wakeup
	;;#ASMEND
.LBB6_214:                              ;   in Loop: Header=BB6_49 Depth=1
	s_or_b32 exec_lo, exec_lo, s21
.LBB6_215:                              ;   in Loop: Header=BB6_49 Depth=1
	s_and_not1_saveexec_b32 s19, s19
	s_cbranch_execz .LBB6_217
; %bb.216:                              ;   in Loop: Header=BB6_49 Depth=1
	global_wb scope:SCOPE_DEV
	s_wait_storecnt 0x0
	s_wait_loadcnt_dscnt 0x0
	global_inv scope:SCOPE_DEV
	s_barrier_signal -1
	s_barrier_wait -1
.LBB6_217:                              ;   in Loop: Header=BB6_49 Depth=1
	s_or_b32 exec_lo, exec_lo, s19
.LBB6_218:                              ;   in Loop: Header=BB6_49 Depth=1
	s_delay_alu instid0(SALU_CYCLE_1)
	s_or_b32 exec_lo, exec_lo, s7
	s_trap 2
	ds_load_b32 v32, v0
	v_cmp_lt_i32_e32 vcc_lo, 0, v64
	s_wait_dscnt 0x0
	v_readfirstlane_b32 s7, v32
	v_and_b32_e32 v32, 16, v30
	s_cmp_eq_u32 s7, 0
	s_delay_alu instid0(VALU_DEP_1) | instskip(SKIP_1) | instid1(SALU_CYCLE_1)
	v_cmp_ne_u32_e64 s7, 0, v32
	s_cselect_b32 s19, -1, 0
	s_and_b32 s19, vcc_lo, s19
	s_delay_alu instid0(SALU_CYCLE_1) | instskip(NEXT) | instid1(SALU_CYCLE_1)
	s_and_b32 s19, s7, s19
	s_and_saveexec_b32 s7, s19
	s_cbranch_execz .LBB6_220
; %bb.219:                              ;   in Loop: Header=BB6_49 Depth=1
	global_wb scope:SCOPE_SYS
	s_wait_loadcnt 0x0
	s_wait_storecnt 0x0
	global_inv scope:SCOPE_SYS
.LBB6_220:                              ;   in Loop: Header=BB6_49 Depth=1
	s_or_b32 exec_lo, exec_lo, s7
	v_cmp_ne_u32_e32 vcc_lo, 0, v32
	s_and_b32 s19, vcc_lo, s18
	s_delay_alu instid0(SALU_CYCLE_1)
	s_and_saveexec_b32 s7, s19
	s_cbranch_execz .LBB6_222
; %bb.221:                              ;   in Loop: Header=BB6_49 Depth=1
	global_wb scope:SCOPE_SYS
	s_wait_loadcnt 0x0
	s_wait_storecnt 0x0
	flat_store_b32 v[26:27], v87 scope:SCOPE_SYS
.LBB6_222:                              ;   in Loop: Header=BB6_49 Depth=1
	s_wait_xcnt 0x0
	s_or_b32 exec_lo, exec_lo, s7
	v_and_b32_e32 v32, 48, v30
	s_mov_b32 s7, exec_lo
	s_delay_alu instid0(VALU_DEP_1)
	v_cmpx_ne_u32_e32 0, v32
	s_cbranch_execz .LBB6_47
; %bb.223:                              ;   in Loop: Header=BB6_49 Depth=1
	v_add_nc_u64_e32 v[8:9], 1, v[8:9]
	global_wb scope:SCOPE_SYS
	s_wait_storecnt 0x0
	s_wait_loadcnt_dscnt 0x0
	flat_store_b64 v[18:19], v[8:9] scope:SCOPE_SYS
	s_branch .LBB6_47
.LBB6_224:
	s_or_b32 exec_lo, exec_lo, s16
.LBB6_225:
	s_delay_alu instid0(SALU_CYCLE_1)
	s_or_b32 exec_lo, exec_lo, s14
                                        ; implicit-def: $vgpr14_vgpr15
                                        ; implicit-def: $vgpr4_vgpr5
                                        ; implicit-def: $vgpr20
                                        ; implicit-def: $vgpr24_vgpr25
                                        ; implicit-def: $vgpr22_vgpr23
                                        ; implicit-def: $vgpr18_vgpr19
                                        ; implicit-def: $vgpr0
                                        ; implicit-def: $vgpr51
                                        ; implicit-def: $vgpr12_vgpr13
.LBB6_226:
	s_and_not1_saveexec_b32 s13, s13
	s_cbranch_execz .LBB6_396
; %bb.227:
	v_mov_b64_e32 v[10:11], 0
	s_mov_b32 s14, exec_lo
	v_cmpx_ne_u64_e32 0, v[4:5]
	s_cbranch_execz .LBB6_395
; %bb.228:
	v_dual_ashrrev_i32 v10, 31, v0 :: v_dual_bitop2_b32 v11, 31, v31 bitop3:0x40
	v_dual_ashrrev_i32 v21, 31, v20 :: v_dual_mov_b32 v29, 0
	s_delay_alu instid0(VALU_DEP_2)
	v_dual_lshlrev_b32 v28, 3, v1 :: v_dual_lshrrev_b32 v10, 27, v10
	s_lshr_b32 s4, s10, 27
	v_cmp_eq_u32_e32 vcc_lo, 32, v1
	s_add_co_i32 s7, s10, s4
	v_cmp_eq_u32_e64 s4, 0, v11
	s_wait_dscnt 0x1
	v_dual_add_nc_u32 v10, v0, v10 :: v_dual_lshrrev_b32 v26, 5, v1
	v_cmp_ge_i32_e64 s1, v0, v1
	v_cmp_ne_u32_e64 s2, 32, v1
	v_cmp_ne_u32_e64 s3, v1, v84
	s_delay_alu instid0(VALU_DEP_4) | instskip(SKIP_3) | instid1(VALU_DEP_3)
	v_and_b32_e32 v33, 0xffffffe0, v10
	v_dual_mov_b32 v27, v29 :: v_dual_ashrrev_i32 v80, 5, v10
	v_dual_lshlrev_b32 v32, 11, v26 :: v_dual_lshlrev_b32 v34, 9, v26
	s_wait_dscnt 0x0
	v_dual_mov_b32 v35, v29 :: v_dual_sub_nc_u32 v81, v0, v33
	s_delay_alu instid0(VALU_DEP_3) | instskip(SKIP_1) | instid1(VALU_DEP_3)
	v_dual_mov_b32 v33, v29 :: v_dual_lshlrev_b32 v10, 11, v80
	v_dual_mov_b32 v37, v29 :: v_dual_lshlrev_b32 v36, 10, v26
	v_cmp_le_i32_e64 s5, v81, v51
	s_delay_alu instid0(VALU_DEP_3)
	v_lshl_add_u32 v38, v81, 4, v10
	v_mov_b64_e32 v[50:51], 0
	v_mov_b64_e32 v[10:11], 0
	v_and_b32_e32 v48, 0xff00, v28
	v_cmp_gt_i32_e64 s6, 1, v81
	v_dual_ashrrev_i32 v39, 31, v38 :: v_dual_mov_b32 v49, v29
	v_mov_b32_e32 v82, 1
	s_ashr_i32 s16, s7, 5
	s_mov_b32 s15, 0
	s_xor_b32 s17, vcc_lo, -1
	s_trap 2
	s_branch .LBB6_231
.LBB6_229:                              ;   in Loop: Header=BB6_231 Depth=1
	s_wait_xcnt 0x0
	s_or_b32 exec_lo, exec_lo, s7
.LBB6_230:                              ;   in Loop: Header=BB6_231 Depth=1
	s_delay_alu instid0(SALU_CYCLE_1) | instskip(SKIP_1) | instid1(VALU_DEP_1)
	s_or_b32 exec_lo, exec_lo, s19
	v_add_nc_u64_e32 v[50:51], v[50:51], v[12:13]
	v_cmp_ge_u64_e32 vcc_lo, v[50:51], v[4:5]
	s_or_b32 s15, vcc_lo, s15
	s_delay_alu instid0(SALU_CYCLE_1)
	s_and_not1_b32 exec_lo, exec_lo, s15
	s_cbranch_execz .LBB6_394
.LBB6_231:                              ; =>This Loop Header: Depth=1
                                        ;     Child Loop BB6_240 Depth 2
                                        ;     Child Loop BB6_264 Depth 2
                                        ;     Child Loop BB6_283 Depth 2
                                        ;     Child Loop BB6_305 Depth 2
                                        ;     Child Loop BB6_310 Depth 2
                                        ;     Child Loop BB6_318 Depth 2
                                        ;     Child Loop BB6_323 Depth 2
                                        ;     Child Loop BB6_332 Depth 2
                                        ;     Child Loop BB6_355 Depth 2
                                        ;     Child Loop BB6_379 Depth 2
	v_sub_nc_u64_e32 v[52:53], v[4:5], v[50:51]
	v_mov_b32_e32 v66, 0
	s_delay_alu instid0(VALU_DEP_2) | instskip(NEXT) | instid1(VALU_DEP_1)
	v_min_u64 v[52:53], v[12:13], v[52:53]
	v_add_nc_u32_e32 v28, 15, v52
	s_delay_alu instid0(VALU_DEP_2) | instskip(NEXT) | instid1(VALU_DEP_2)
	v_cmp_eq_u64_e32 vcc_lo, 0, v[52:53]
	v_and_b32_e32 v28, 0xffffff0, v28
	s_or_b32 s18, s1, vcc_lo
	s_delay_alu instid0(SALU_CYCLE_1) | instskip(NEXT) | instid1(VALU_DEP_1)
	s_xor_b32 s7, s18, -1
	v_max_i32_e32 v53, s16, v28
	s_and_saveexec_b32 s19, s7
	s_cbranch_execz .LBB6_348
; %bb.232:                              ;   in Loop: Header=BB6_231 Depth=1
	s_and_saveexec_b32 s7, s0
	s_cbranch_execz .LBB6_234
; %bb.233:                              ;   in Loop: Header=BB6_231 Depth=1
	s_trap 2
	ds_load_b64 v[54:55], v0
	ds_load_2addr_b64 v[64:67], v0 offset1:1
	v_add_nc_u64_e32 v[68:69], v[50:51], v[14:15]
	s_delay_alu instid0(VALU_DEP_1) | instskip(SKIP_1) | instid1(VALU_DEP_1)
	v_lshlrev_b64_e32 v[68:69], 3, v[68:69]
	s_wait_dscnt 0x1
	v_add_nc_u64_e32 v[70:71], v[54:55], v[68:69]
	v_cmp_ne_u64_e32 vcc_lo, 0, v[54:55]
	s_wait_dscnt 0x0
	v_add_nc_u64_e32 v[54:55], v[64:65], v[68:69]
	v_add_nc_u64_e32 v[64:65], v[66:67], v[68:69]
	s_delay_alu instid0(VALU_DEP_4)
	v_dual_cndmask_b32 v67, 0, v71 :: v_dual_cndmask_b32 v66, 0, v70
	ds_store_b64 v0, v[54:55]
	ds_store_b64 v0, v[64:65]
	;; [unrolled: 1-line block ×3, first 2 shown]
.LBB6_234:                              ;   in Loop: Header=BB6_231 Depth=1
	s_or_b32 exec_lo, exec_lo, s7
	v_and_b32_e32 v28, 4, v30
	s_mov_b32 s20, exec_lo
	s_delay_alu instid0(VALU_DEP_1)
	v_cmpx_ne_u32_e32 0, v28
	s_cbranch_execz .LBB6_256
; %bb.235:                              ;   in Loop: Header=BB6_231 Depth=1
	v_add_nc_u64_e32 v[54:55], 1, v[8:9]
	s_mov_b32 s21, exec_lo
	s_wait_loadcnt 0x0
	s_delay_alu instid0(VALU_DEP_1)
	v_cmpx_lt_u64_e64 v[24:25], v[54:55]
	s_cbranch_execz .LBB6_247
; %bb.236:                              ;   in Loop: Header=BB6_231 Depth=1
	v_and_b32_e32 v9, 64, v30
	s_mov_b32 s22, 0
	s_mov_b32 s26, 0
                                        ; implicit-def: $sgpr23
                                        ; implicit-def: $sgpr24
                                        ; implicit-def: $sgpr25
	s_delay_alu instid0(VALU_DEP_1)
	v_cmp_eq_u32_e32 vcc_lo, 0, v9
	s_branch .LBB6_240
.LBB6_237:                              ;   in Loop: Header=BB6_240 Depth=2
	s_wait_loadcnt_dscnt 0x0
	v_cmp_ge_u64_e64 s7, v[24:25], v[54:55]
	s_or_b32 s29, s29, exec_lo
	s_or_not1_b32 s28, s7, exec_lo
.LBB6_238:                              ;   in Loop: Header=BB6_240 Depth=2
	s_or_b32 exec_lo, exec_lo, s41
	s_delay_alu instid0(SALU_CYCLE_1)
	s_and_not1_b32 s7, s25, exec_lo
	s_and_b32 s25, s29, exec_lo
	s_and_not1_b32 s24, s24, exec_lo
	s_and_b32 s28, s28, exec_lo
	s_or_b32 s25, s7, s25
	s_or_b32 s24, s24, s28
.LBB6_239:                              ;   in Loop: Header=BB6_240 Depth=2
	s_or_b32 exec_lo, exec_lo, s27
	s_delay_alu instid0(SALU_CYCLE_1) | instskip(NEXT) | instid1(SALU_CYCLE_1)
	s_and_b32 s7, exec_lo, s24
	s_or_b32 s22, s7, s22
	s_and_not1_b32 s7, s23, exec_lo
	s_and_b32 s23, s25, exec_lo
	s_delay_alu instid0(SALU_CYCLE_1)
	s_or_b32 s23, s7, s23
	s_and_not1_b32 exec_lo, exec_lo, s22
	s_cbranch_execz .LBB6_244
.LBB6_240:                              ;   Parent Loop BB6_231 Depth=1
                                        ; =>  This Inner Loop Header: Depth=2
	s_sleep 1
	s_wait_loadcnt_dscnt 0x0
	flat_load_b64 v[24:25], v[18:19] scope:SCOPE_SYS
	s_or_b32 s25, s25, exec_lo
	s_or_b32 s24, s24, exec_lo
                                        ; implicit-def: $vgpr9
	s_wait_xcnt 0x0
	s_and_saveexec_b32 s27, vcc_lo
	s_cbranch_execz .LBB6_239
; %bb.241:                              ;   in Loop: Header=BB6_240 Depth=2
	s_cmp_lt_i32 s26, 0x270f
	s_mov_b32 s28, -1
	s_cselect_b32 s40, -1, 0
	s_cmp_gt_i32 s26, 0x270e
	s_cbranch_scc0 .LBB6_243
; %bb.242:                              ;   in Loop: Header=BB6_240 Depth=2
	s_trap 2
	ds_load_b64 v[64:65], v0
	s_and_not1_b32 s26, s40, exec_lo
	s_mov_b32 s29, 0
	s_wait_storecnt 0x0
	s_wait_loadcnt_dscnt 0x0
	flat_load_b32 v9, v[64:65] scope:SCOPE_SYS
	s_wait_loadcnt_dscnt 0x0
	global_inv scope:SCOPE_SYS
	v_cmp_eq_u32_e64 s7, 0, v9
	s_and_b32 s7, s7, exec_lo
	s_delay_alu instid0(SALU_CYCLE_1)
	s_or_b32 s40, s26, s7
	s_mov_b32 s26, 0
	s_and_saveexec_b32 s41, s40
	s_cbranch_execz .LBB6_238
	s_branch .LBB6_237
.LBB6_243:                              ;   in Loop: Header=BB6_240 Depth=2
	s_add_co_i32 s26, s26, 1
	s_mov_b32 s29, -1
                                        ; implicit-def: $vgpr9
	s_and_saveexec_b32 s41, s40
	s_cbranch_execz .LBB6_238
	s_branch .LBB6_237
.LBB6_244:                              ;   in Loop: Header=BB6_231 Depth=1
	s_or_b32 exec_lo, exec_lo, s22
	s_xor_b32 s7, s23, -1
	s_delay_alu instid0(SALU_CYCLE_1) | instskip(NEXT) | instid1(SALU_CYCLE_1)
	s_and_saveexec_b32 s22, s7
	s_xor_b32 s7, exec_lo, s22
	s_cbranch_execz .LBB6_246
; %bb.245:                              ;   in Loop: Header=BB6_231 Depth=1
	v_or_b32_e32 v30, 64, v30
	s_wait_storecnt 0x0
	s_wait_loadcnt_dscnt 0x0
	ds_store_b32 v0, v9
	s_trap 2
.LBB6_246:                              ;   in Loop: Header=BB6_231 Depth=1
	s_or_b32 exec_lo, exec_lo, s7
.LBB6_247:                              ;   in Loop: Header=BB6_231 Depth=1
	s_delay_alu instid0(SALU_CYCLE_1) | instskip(SKIP_4) | instid1(VALU_DEP_2)
	s_or_b32 exec_lo, exec_lo, s21
	v_and_b32_e32 v9, 0x100, v30
	v_and_b32_e32 v28, 7, v8
	s_mov_b32 s7, -1
	;;#ASMSTART
	s_wakeup
	;;#ASMEND
	v_cmp_ne_u32_e32 vcc_lo, 0, v9
                                        ; implicit-def: $vgpr8_vgpr9
	s_and_saveexec_b32 s21, vcc_lo
	s_cbranch_execz .LBB6_251
; %bb.248:                              ;   in Loop: Header=BB6_231 Depth=1
	v_mad_nc_u64_u32 v[64:65], v28, 24, v[6:7]
	flat_load_b32 v8, v[64:65]
	s_wait_loadcnt_dscnt 0x0
	v_cmp_eq_u32_e64 s7, 1, v8
	v_cmp_ne_u32_e32 vcc_lo, 1, v8
                                        ; implicit-def: $vgpr8_vgpr9
	s_wait_xcnt 0x0
	s_and_saveexec_b32 s22, s7
	s_cbranch_execz .LBB6_250
; %bb.249:                              ;   in Loop: Header=BB6_231 Depth=1
	flat_load_b32 v8, v[64:65] offset:4 scope:SCOPE_SYS
	s_wait_loadcnt_dscnt 0x0
	v_ashrrev_i32_e32 v9, 31, v8
	s_delay_alu instid0(VALU_DEP_1)
	v_lshrrev_b64 v[8:9], 3, v[8:9]
.LBB6_250:                              ;   in Loop: Header=BB6_231 Depth=1
	s_wait_xcnt 0x0
	s_or_b32 exec_lo, exec_lo, s22
	s_delay_alu instid0(SALU_CYCLE_1)
	s_or_not1_b32 s7, vcc_lo, exec_lo
.LBB6_251:                              ;   in Loop: Header=BB6_231 Depth=1
	s_or_b32 exec_lo, exec_lo, s21
	s_and_saveexec_b32 s21, s7
; %bb.252:                              ;   in Loop: Header=BB6_231 Depth=1
	v_mul_u64_e32 v[8:9], v[28:29], v[20:21]
; %bb.253:                              ;   in Loop: Header=BB6_231 Depth=1
	s_or_b32 exec_lo, exec_lo, s21
	v_and_b32_e32 v28, 0x2000, v30
	s_delay_alu instid0(VALU_DEP_2)
	v_lshl_add_u64 v[8:9], v[8:9], 3, v[22:23]
	s_mov_b32 s7, exec_lo
	ds_store_b64 v0, v[8:9] offset:728
	v_cmpx_ne_u32_e32 0, v28
	s_cbranch_execz .LBB6_255
; %bb.254:                              ;   in Loop: Header=BB6_231 Depth=1
	ds_load_b64 v[8:9], v0 offset:872
	s_wait_dscnt 0x0
	v_add_nc_u64_e32 v[8:9], 1, v[8:9]
	ds_store_b64 v0, v[8:9] offset:872
.LBB6_255:                              ;   in Loop: Header=BB6_231 Depth=1
	s_or_b32 exec_lo, exec_lo, s7
	v_mov_b64_e32 v[8:9], v[54:55]
.LBB6_256:                              ;   in Loop: Header=BB6_231 Depth=1
	s_or_b32 exec_lo, exec_lo, s20
	s_and_saveexec_b32 s7, s2
	s_cbranch_execz .LBB6_275
; %bb.257:                              ;   in Loop: Header=BB6_231 Depth=1
	s_and_saveexec_b32 s20, s3
	s_delay_alu instid0(SALU_CYCLE_1)
	s_xor_b32 s20, exec_lo, s20
	s_cbranch_execz .LBB6_272
; %bb.258:                              ;   in Loop: Header=BB6_231 Depth=1
	s_and_saveexec_b32 s21, s4
	s_cbranch_execz .LBB6_271
; %bb.259:                              ;   in Loop: Header=BB6_231 Depth=1
	s_mov_b32 s23, exec_lo
	s_mov_b32 s22, exec_lo
	v_mbcnt_lo_u32_b32 v28, s23, 0
	global_wb scope:SCOPE_DEV
	s_wait_storecnt 0x0
	s_wait_loadcnt_dscnt 0x0
	global_inv scope:SCOPE_DEV
	v_cmpx_eq_u32_e32 0, v28
	s_cbranch_execz .LBB6_261
; %bb.260:                              ;   in Loop: Header=BB6_231 Depth=1
	s_bcnt1_i32_b32 s23, s23
	s_delay_alu instid0(SALU_CYCLE_1)
	v_mov_b32_e32 v28, s23
	s_wait_loadcnt 0x0
	ds_add_u64 v0, v[28:29]
	s_trap 2
.LBB6_261:                              ;   in Loop: Header=BB6_231 Depth=1
	s_or_b32 exec_lo, exec_lo, s22
	s_trap 2
	ds_load_b64 v[54:55], v0
	s_wait_dscnt 0x0
	v_add_nc_u64_e32 v[10:11], v[10:11], v[26:27]
	s_mov_b32 s22, exec_lo
	s_delay_alu instid0(VALU_DEP_1)
	v_cmpx_lt_u64_e64 v[54:55], v[10:11]
	s_cbranch_execz .LBB6_270
; %bb.262:                              ;   in Loop: Header=BB6_231 Depth=1
	s_mov_b32 s23, 0
	s_mov_b32 s26, 0
                                        ; implicit-def: $sgpr24
                                        ; implicit-def: $sgpr25
	s_branch .LBB6_264
.LBB6_263:                              ;   in Loop: Header=BB6_264 Depth=2
	s_or_b32 exec_lo, exec_lo, s28
	s_delay_alu instid0(SALU_CYCLE_1) | instskip(NEXT) | instid1(SALU_CYCLE_1)
	s_and_b32 s27, exec_lo, s29
	s_or_b32 s23, s27, s23
	s_and_not1_b32 s24, s24, exec_lo
	s_and_b32 s27, s25, exec_lo
	s_delay_alu instid0(SALU_CYCLE_1)
	s_or_b32 s24, s24, s27
	s_and_not1_b32 exec_lo, exec_lo, s23
	s_cbranch_execz .LBB6_268
.LBB6_264:                              ;   Parent Loop BB6_231 Depth=1
                                        ; =>  This Inner Loop Header: Depth=2
	s_add_co_i32 s26, s26, 1
	s_delay_alu instid0(SALU_CYCLE_1) | instskip(SKIP_1) | instid1(SALU_CYCLE_1)
	s_cmp_lg_u32 s26, 0x2710
	s_cselect_b32 s27, -1, 0
	s_and_b32 vcc_lo, exec_lo, s27
	s_cbranch_vccz .LBB6_266
; %bb.265:                              ;   in Loop: Header=BB6_264 Depth=2
	s_mov_b32 s29, -1
	s_or_b32 s25, s25, exec_lo
	s_and_saveexec_b32 s28, s27
	s_cbranch_execz .LBB6_263
	s_branch .LBB6_267
.LBB6_266:                              ;   in Loop: Header=BB6_264 Depth=2
	s_trap 2
	ds_load_b64 v[54:55], v0
	s_and_not1_b32 s27, s27, exec_lo
	s_mov_b32 s26, 0
	s_wait_loadcnt_dscnt 0x0
	flat_load_b32 v28, v[54:55] scope:SCOPE_SYS
	s_wait_loadcnt_dscnt 0x0
	global_inv scope:SCOPE_SYS
	v_cmp_eq_u32_e32 vcc_lo, 0, v28
	s_and_b32 s28, vcc_lo, exec_lo
	s_delay_alu instid0(SALU_CYCLE_1)
	s_or_b32 s27, s27, s28
	s_mov_b32 s29, -1
	s_or_b32 s25, s25, exec_lo
	s_and_saveexec_b32 s28, s27
	s_cbranch_execz .LBB6_263
.LBB6_267:                              ;   in Loop: Header=BB6_264 Depth=2
	s_sleep 1
	s_trap 2
	ds_load_b64 v[54:55], v0
	s_wait_dscnt 0x0
	s_and_not1_b32 s25, s25, exec_lo
	v_cmp_ge_u64_e32 vcc_lo, v[54:55], v[10:11]
	s_or_not1_b32 s29, vcc_lo, exec_lo
	s_branch .LBB6_263
.LBB6_268:                              ;   in Loop: Header=BB6_231 Depth=1
	s_or_b32 exec_lo, exec_lo, s23
	s_and_saveexec_b32 s23, s24
	s_delay_alu instid0(SALU_CYCLE_1)
	s_xor_b32 s23, exec_lo, s23
	s_cbranch_execz .LBB6_270
; %bb.269:                              ;   in Loop: Header=BB6_231 Depth=1
	ds_store_b32 v0, v82
	s_trap 2
.LBB6_270:                              ;   in Loop: Header=BB6_231 Depth=1
	s_or_b32 exec_lo, exec_lo, s22
	;;#ASMSTART
	s_wakeup
	;;#ASMEND
.LBB6_271:                              ;   in Loop: Header=BB6_231 Depth=1
	s_or_b32 exec_lo, exec_lo, s21
.LBB6_272:                              ;   in Loop: Header=BB6_231 Depth=1
	s_and_not1_saveexec_b32 s20, s20
	s_cbranch_execz .LBB6_274
; %bb.273:                              ;   in Loop: Header=BB6_231 Depth=1
	global_wb scope:SCOPE_DEV
	s_wait_storecnt 0x0
	s_wait_loadcnt_dscnt 0x0
	global_inv scope:SCOPE_DEV
	s_barrier_signal -1
	s_barrier_wait -1
.LBB6_274:                              ;   in Loop: Header=BB6_231 Depth=1
	s_or_b32 exec_lo, exec_lo, s20
.LBB6_275:                              ;   in Loop: Header=BB6_231 Depth=1
	s_delay_alu instid0(SALU_CYCLE_1) | instskip(SKIP_3) | instid1(VALU_DEP_1)
	s_or_b32 exec_lo, exec_lo, s7
	s_trap 2
	ds_load_b32 v66, v0
	v_and_b32_e32 v28, 0x4000, v30
	v_cmp_ne_u32_e32 vcc_lo, 0, v28
	s_and_b32 s20, s17, vcc_lo
	s_delay_alu instid0(SALU_CYCLE_1)
	s_and_saveexec_b32 s7, s20
	s_cbranch_execz .LBB6_294
; %bb.276:                              ;   in Loop: Header=BB6_231 Depth=1
	s_and_saveexec_b32 s20, s3
	s_delay_alu instid0(SALU_CYCLE_1)
	s_xor_b32 s20, exec_lo, s20
	s_cbranch_execz .LBB6_291
; %bb.277:                              ;   in Loop: Header=BB6_231 Depth=1
	s_and_saveexec_b32 s21, s4
	s_cbranch_execz .LBB6_290
; %bb.278:                              ;   in Loop: Header=BB6_231 Depth=1
	s_mov_b32 s23, exec_lo
	s_mov_b32 s22, exec_lo
	v_mbcnt_lo_u32_b32 v28, s23, 0
	global_wb scope:SCOPE_DEV
	s_wait_storecnt 0x0
	s_wait_loadcnt_dscnt 0x0
	global_inv scope:SCOPE_DEV
	v_cmpx_eq_u32_e32 0, v28
	s_cbranch_execz .LBB6_280
; %bb.279:                              ;   in Loop: Header=BB6_231 Depth=1
	s_bcnt1_i32_b32 s23, s23
	s_delay_alu instid0(SALU_CYCLE_1)
	v_mov_b32_e32 v28, s23
	s_wait_loadcnt 0x0
	ds_add_u64 v0, v[28:29]
	s_trap 2
.LBB6_280:                              ;   in Loop: Header=BB6_231 Depth=1
	s_or_b32 exec_lo, exec_lo, s22
	s_trap 2
	ds_load_b64 v[54:55], v0
	s_wait_dscnt 0x0
	v_add_nc_u64_e32 v[10:11], v[10:11], v[26:27]
	s_mov_b32 s22, exec_lo
	s_delay_alu instid0(VALU_DEP_1)
	v_cmpx_lt_u64_e64 v[54:55], v[10:11]
	s_cbranch_execz .LBB6_289
; %bb.281:                              ;   in Loop: Header=BB6_231 Depth=1
	s_mov_b32 s23, 0
	s_mov_b32 s26, 0
                                        ; implicit-def: $sgpr24
                                        ; implicit-def: $sgpr25
	s_branch .LBB6_283
.LBB6_282:                              ;   in Loop: Header=BB6_283 Depth=2
	s_or_b32 exec_lo, exec_lo, s28
	s_delay_alu instid0(SALU_CYCLE_1) | instskip(NEXT) | instid1(SALU_CYCLE_1)
	s_and_b32 s27, exec_lo, s29
	s_or_b32 s23, s27, s23
	s_and_not1_b32 s24, s24, exec_lo
	s_and_b32 s27, s25, exec_lo
	s_delay_alu instid0(SALU_CYCLE_1)
	s_or_b32 s24, s24, s27
	s_and_not1_b32 exec_lo, exec_lo, s23
	s_cbranch_execz .LBB6_287
.LBB6_283:                              ;   Parent Loop BB6_231 Depth=1
                                        ; =>  This Inner Loop Header: Depth=2
	s_add_co_i32 s26, s26, 1
	s_delay_alu instid0(SALU_CYCLE_1) | instskip(SKIP_1) | instid1(SALU_CYCLE_1)
	s_cmp_lg_u32 s26, 0x2710
	s_cselect_b32 s27, -1, 0
	s_and_b32 vcc_lo, exec_lo, s27
	s_cbranch_vccz .LBB6_285
; %bb.284:                              ;   in Loop: Header=BB6_283 Depth=2
	s_mov_b32 s29, -1
	s_or_b32 s25, s25, exec_lo
	s_and_saveexec_b32 s28, s27
	s_cbranch_execz .LBB6_282
	s_branch .LBB6_286
.LBB6_285:                              ;   in Loop: Header=BB6_283 Depth=2
	s_trap 2
	ds_load_b64 v[54:55], v0
	s_and_not1_b32 s27, s27, exec_lo
	s_mov_b32 s26, 0
	s_wait_loadcnt_dscnt 0x0
	flat_load_b32 v28, v[54:55] scope:SCOPE_SYS
	s_wait_loadcnt_dscnt 0x0
	global_inv scope:SCOPE_SYS
	v_cmp_eq_u32_e32 vcc_lo, 0, v28
	s_and_b32 s28, vcc_lo, exec_lo
	s_delay_alu instid0(SALU_CYCLE_1)
	s_or_b32 s27, s27, s28
	s_mov_b32 s29, -1
	s_or_b32 s25, s25, exec_lo
	s_and_saveexec_b32 s28, s27
	s_cbranch_execz .LBB6_282
.LBB6_286:                              ;   in Loop: Header=BB6_283 Depth=2
	s_sleep 1
	s_trap 2
	ds_load_b64 v[54:55], v0
	s_wait_dscnt 0x0
	s_and_not1_b32 s25, s25, exec_lo
	v_cmp_ge_u64_e32 vcc_lo, v[54:55], v[10:11]
	s_or_not1_b32 s29, vcc_lo, exec_lo
	s_branch .LBB6_282
.LBB6_287:                              ;   in Loop: Header=BB6_231 Depth=1
	s_or_b32 exec_lo, exec_lo, s23
	s_and_saveexec_b32 s23, s24
	s_delay_alu instid0(SALU_CYCLE_1)
	s_xor_b32 s23, exec_lo, s23
	s_cbranch_execz .LBB6_289
; %bb.288:                              ;   in Loop: Header=BB6_231 Depth=1
	ds_store_b32 v0, v82
	s_trap 2
.LBB6_289:                              ;   in Loop: Header=BB6_231 Depth=1
	s_or_b32 exec_lo, exec_lo, s22
	;;#ASMSTART
	s_wakeup
	;;#ASMEND
.LBB6_290:                              ;   in Loop: Header=BB6_231 Depth=1
	s_or_b32 exec_lo, exec_lo, s21
.LBB6_291:                              ;   in Loop: Header=BB6_231 Depth=1
	s_and_not1_saveexec_b32 s20, s20
	s_cbranch_execz .LBB6_293
; %bb.292:                              ;   in Loop: Header=BB6_231 Depth=1
	global_wb scope:SCOPE_DEV
	s_wait_storecnt 0x0
	s_wait_loadcnt_dscnt 0x0
	global_inv scope:SCOPE_DEV
	s_barrier_signal -1
	s_barrier_wait -1
.LBB6_293:                              ;   in Loop: Header=BB6_231 Depth=1
	s_or_b32 exec_lo, exec_lo, s20
.LBB6_294:                              ;   in Loop: Header=BB6_231 Depth=1
	s_delay_alu instid0(SALU_CYCLE_1)
	s_or_b32 exec_lo, exec_lo, s7
	s_trap 2
	ds_load_b64 v[54:55], v0
	v_min_u32_e32 v53, v53, v52
	s_wait_dscnt 0x0
	v_cmp_eq_u64_e32 vcc_lo, 0, v[54:55]
	s_cbranch_vccnz .LBB6_302
; %bb.295:                              ;   in Loop: Header=BB6_231 Depth=1
	s_trap 2
	ds_load_b64 v[64:65], v0
	s_wait_dscnt 0x0
	v_cmp_eq_u64_e32 vcc_lo, 0, v[64:65]
	s_cbranch_vccnz .LBB6_302
; %bb.296:                              ;   in Loop: Header=BB6_231 Depth=1
	s_mov_b32 s7, -1
	s_and_saveexec_b32 s20, s5
	s_cbranch_execz .LBB6_298
; %bb.297:                              ;   in Loop: Header=BB6_231 Depth=1
	ds_load_b32 v28, v0 offset:720
	s_wait_dscnt 0x0
	v_and_b32_e32 v28, 15, v28
	s_delay_alu instid0(VALU_DEP_1)
	v_cmp_eq_u32_e32 vcc_lo, 0, v28
	s_or_not1_b32 s7, vcc_lo, exec_lo
.LBB6_298:                              ;   in Loop: Header=BB6_231 Depth=1
	s_or_b32 exec_lo, exec_lo, s20
	s_and_saveexec_b32 s20, s6
	s_cbranch_execz .LBB6_300
; %bb.299:                              ;   in Loop: Header=BB6_231 Depth=1
	ds_load_b32 v28, v0 offset:784
	s_wait_dscnt 0x0
	v_and_b32_e32 v28, 15, v28
	s_delay_alu instid0(VALU_DEP_1) | instskip(SKIP_3) | instid1(SALU_CYCLE_1)
	v_cmp_eq_u32_e32 vcc_lo, 0, v28
	s_and_b32 s21, s7, vcc_lo
	s_and_not1_b32 s7, s7, exec_lo
	s_and_b32 s21, s21, exec_lo
	s_or_b32 s7, s7, s21
.LBB6_300:                              ;   in Loop: Header=BB6_231 Depth=1
	s_or_b32 exec_lo, exec_lo, s20
	v_cmp_eq_u32_e32 vcc_lo, 0, v66
	s_xor_b32 s7, s7, -1
	s_mov_b32 s21, -1
	v_cndmask_b32_e64 v67, 0, 1, s7
	v_dual_mov_b32 v85, 0 :: v_dual_cndmask_b32 v28, 0, v53
	s_delay_alu instid0(VALU_DEP_2) | instskip(NEXT) | instid1(VALU_DEP_2)
	v_cmp_ne_u32_e32 vcc_lo, 0, v67
	v_lshlrev_b32_e32 v83, 3, v28
	s_cbranch_vccz .LBB6_303
; %bb.301:                              ;   in Loop: Header=BB6_231 Depth=1
	v_dual_mov_b32 v86, v0 :: v_dual_mov_b32 v66, v80
	s_and_saveexec_b32 s7, s21
	s_cbranch_execnz .LBB6_316
	s_branch .LBB6_324
.LBB6_302:                              ;   in Loop: Header=BB6_231 Depth=1
	s_mov_b32 s7, 0
	s_and_saveexec_b32 s20, s2
	s_cbranch_execnz .LBB6_325
	s_branch .LBB6_343
.LBB6_303:                              ;   in Loop: Header=BB6_231 Depth=1
	v_lshrrev_b32_e32 v85, 8, v28
	s_mov_b32 s7, exec_lo
	s_delay_alu instid0(VALU_DEP_1) | instskip(NEXT) | instid1(VALU_DEP_1)
	v_sub_nc_u32_e32 v96, v85, v80
	v_cmpx_lt_i32_e32 0, v96
	s_cbranch_execz .LBB6_307
; %bb.304:                              ;   in Loop: Header=BB6_231 Depth=1
	s_trap 2
	ds_load_b64 v[68:69], v0
	v_add_nc_u64_e32 v[66:67], v[54:55], v[38:39]
	v_add_nc_u64_e32 v[70:71], v[64:65], v[38:39]
	s_mov_b32 s20, 0
	s_wait_dscnt 0x0
	v_add_nc_u64_e32 v[68:69], v[68:69], v[38:39]
.LBB6_305:                              ;   Parent Loop BB6_231 Depth=1
                                        ; =>  This Inner Loop Header: Depth=2
	global_load_b128 v[98:101], v[68:69], off th:TH_LOAD_NT
	s_clause 0x1
	global_load_b128 v[112:115], v[66:67], off th:TH_LOAD_NT
	global_load_b128 v[116:119], v[66:67], off offset:512 th:TH_LOAD_NT
	s_clause 0x1
	global_load_b128 v[40:43], v[68:69], off offset:512 th:TH_LOAD_NT
	global_load_b128 v[44:47], v[68:69], off offset:1024 th:TH_LOAD_NT
	s_clause 0x1
	global_load_b128 v[56:59], v[66:67], off offset:1024 th:TH_LOAD_NT
	global_load_b128 v[60:63], v[66:67], off offset:1536 th:TH_LOAD_NT
	;; [unrolled: 1-line block ×3, first 2 shown]
	v_sub_nc_u32_e32 v96, v96, v26
	s_wait_xcnt 0x1
	v_add_nc_u64_e32 v[66:67], v[66:67], v[32:33]
	s_wait_xcnt 0x0
	v_add_nc_u64_e32 v[68:69], v[68:69], v[32:33]
	v_cmp_gt_i32_e32 vcc_lo, 1, v96
	s_or_b32 s20, vcc_lo, s20
	s_wait_loadcnt 0x6
	v_mul_u64_e32 v[98:99], v[98:99], v[112:113]
	v_mul_u64_e32 v[100:101], v[100:101], v[114:115]
	s_wait_loadcnt 0x4
	v_mul_u64_e32 v[112:113], v[40:41], v[116:117]
	v_mul_u64_e32 v[114:115], v[42:43], v[118:119]
	;; [unrolled: 3-line block ×4, first 2 shown]
	s_clause 0x3
	global_store_b128 v[70:71], v[98:101], off th:TH_STORE_NT
	global_store_b128 v[70:71], v[112:115], off offset:512 th:TH_STORE_NT
	global_store_b128 v[70:71], v[116:119], off offset:1024 th:TH_STORE_NT
	;; [unrolled: 1-line block ×3, first 2 shown]
	s_wait_xcnt 0x0
	v_add_nc_u64_e32 v[70:71], v[70:71], v[32:33]
	s_and_not1_b32 exec_lo, exec_lo, s20
	s_cbranch_execnz .LBB6_305
; %bb.306:                              ;   in Loop: Header=BB6_231 Depth=1
	s_or_b32 exec_lo, exec_lo, s20
.LBB6_307:                              ;   in Loop: Header=BB6_231 Depth=1
	s_delay_alu instid0(SALU_CYCLE_1) | instskip(SKIP_3) | instid1(VALU_DEP_1)
	s_or_b32 exec_lo, exec_lo, s7
	v_dual_lshlrev_b32 v87, 11, v85 :: v_dual_mov_b32 v85, 0
	s_mov_b32 s21, 0
	s_mov_b32 s20, exec_lo
                                        ; implicit-def: $vgpr86
                                        ; implicit-def: $vgpr66
	v_cmpx_ne_u32_e64 v83, v87
	s_cbranch_execz .LBB6_315
; %bb.308:                              ;   in Loop: Header=BB6_231 Depth=1
	v_dual_lshlrev_b32 v66, 5, v96 :: v_dual_sub_nc_u32 v68, v83, v87
	s_mov_b32 s21, exec_lo
	s_delay_alu instid0(VALU_DEP_1) | instskip(NEXT) | instid1(VALU_DEP_1)
	v_dual_sub_nc_u32 v66, v81, v66 :: v_dual_ashrrev_i32 v69, 31, v68
	v_dual_ashrrev_i32 v67, 31, v66 :: v_dual_lshrrev_b32 v69, 23, v69
	s_delay_alu instid0(VALU_DEP_1) | instskip(NEXT) | instid1(VALU_DEP_1)
	v_lshrrev_b32_e32 v67, 27, v67
	v_add_nc_u32_e32 v67, v66, v67
	s_delay_alu instid0(VALU_DEP_1) | instskip(NEXT) | instid1(VALU_DEP_1)
	v_and_b32_e32 v70, 0xffffffe0, v67
	v_dual_add_nc_u32 v69, v68, v69 :: v_dual_sub_nc_u32 v97, v66, v70
	s_delay_alu instid0(VALU_DEP_1) | instskip(SKIP_1) | instid1(VALU_DEP_2)
	v_and_b32_e32 v96, 0xfffffe00, v69
	v_dual_ashrrev_i32 v67, 5, v67 :: v_dual_ashrrev_i32 v69, 9, v69
	v_dual_lshlrev_b32 v66, 4, v97 :: v_dual_sub_nc_u32 v98, v68, v96
	s_delay_alu instid0(VALU_DEP_1) | instskip(NEXT) | instid1(VALU_DEP_2)
	v_lshl_add_u32 v66, v67, 9, v66
	v_cmp_lt_i32_e32 vcc_lo, 15, v98
	s_delay_alu instid0(VALU_DEP_4) | instskip(NEXT) | instid1(VALU_DEP_1)
	v_add_co_ci_u32_e64 v69, null, 0, v69, vcc_lo
	v_dual_sub_nc_u32 v85, v68, v66 :: v_dual_sub_nc_u32 v99, v69, v67
	s_delay_alu instid0(VALU_DEP_1)
	v_cmpx_lt_i32_e32 15, v85
	s_cbranch_execz .LBB6_312
; %bb.309:                              ;   in Loop: Header=BB6_231 Depth=1
	s_trap 2
	ds_load_b64 v[68:69], v0
	v_add_nc_u32_e32 v70, v66, v87
	s_mov_b32 s22, 0
	s_delay_alu instid0(VALU_DEP_1) | instskip(NEXT) | instid1(VALU_DEP_1)
	v_ashrrev_i32_e32 v71, 31, v70
	v_add_nc_u64_e32 v[66:67], v[70:71], v[54:55]
	s_wait_dscnt 0x0
	v_add_nc_u64_e32 v[68:69], v[68:69], v[70:71]
	v_add_nc_u64_e32 v[70:71], v[70:71], v[64:65]
.LBB6_310:                              ;   Parent Loop BB6_231 Depth=1
                                        ; =>  This Inner Loop Header: Depth=2
	global_load_b128 v[100:103], v[66:67], off th:TH_LOAD_NT
	global_load_b128 v[112:115], v[68:69], off th:TH_LOAD_NT
	v_sub_nc_u32_e32 v85, v85, v34
	s_wait_xcnt 0x1
	v_add_nc_u64_e32 v[66:67], v[66:67], v[34:35]
	s_wait_xcnt 0x0
	v_add_nc_u64_e32 v[68:69], v[68:69], v[34:35]
	v_sub_nc_u32_e32 v99, v99, v26
	v_cmp_gt_i32_e64 s7, 16, v85
	s_or_b32 s22, s7, s22
	s_wait_loadcnt 0x0
	v_mul_u64_e32 v[100:101], v[112:113], v[100:101]
	v_mul_u64_e32 v[102:103], v[114:115], v[102:103]
	global_store_b128 v[70:71], v[100:103], off th:TH_STORE_NT
	s_wait_xcnt 0x0
	v_add_nc_u64_e32 v[70:71], v[70:71], v[34:35]
	s_and_not1_b32 exec_lo, exec_lo, s22
	s_cbranch_execnz .LBB6_310
; %bb.311:                              ;   in Loop: Header=BB6_231 Depth=1
	s_or_b32 exec_lo, exec_lo, s22
.LBB6_312:                              ;   in Loop: Header=BB6_231 Depth=1
	s_delay_alu instid0(SALU_CYCLE_1) | instskip(SKIP_3) | instid1(VALU_DEP_1)
	s_or_b32 exec_lo, exec_lo, s21
	v_dual_mov_b32 v85, 0 :: v_dual_bitop2_b32 v67, 8, v83 bitop3:0x40
	s_mov_b32 s21, 0
	s_mov_b32 s22, exec_lo
                                        ; implicit-def: $vgpr86
                                        ; implicit-def: $vgpr66
	v_cndmask_b32_e32 v83, v98, v67, vcc_lo
	s_delay_alu instid0(VALU_DEP_1)
	v_cmpx_ne_u32_e32 0, v83
	s_cbranch_execz .LBB6_314
; %bb.313:                              ;   in Loop: Header=BB6_231 Depth=1
	v_cmp_lt_i32_e64 s7, 0, v99
	s_mov_b32 s21, exec_lo
	v_dual_sub_nc_u32 v67, v98, v67 :: v_dual_cndmask_b32 v66, 0, v26, s7
	s_delay_alu instid0(VALU_DEP_1) | instskip(NEXT) | instid1(VALU_DEP_2)
	v_cndmask_b32_e32 v67, 0, v67, vcc_lo
	v_sub_nc_u32_e32 v66, v66, v99
	s_delay_alu instid0(VALU_DEP_2) | instskip(NEXT) | instid1(VALU_DEP_2)
	v_add3_u32 v85, v96, v87, v67
	v_lshl_add_u32 v86, v66, 5, v97
	s_delay_alu instid0(VALU_DEP_1) | instskip(NEXT) | instid1(VALU_DEP_1)
	v_ashrrev_i32_e32 v66, 31, v86
	v_lshrrev_b32_e32 v66, 27, v66
	s_delay_alu instid0(VALU_DEP_1) | instskip(NEXT) | instid1(VALU_DEP_1)
	v_add_nc_u32_e32 v66, v86, v66
	v_ashrrev_i32_e32 v66, 5, v66
.LBB6_314:                              ;   in Loop: Header=BB6_231 Depth=1
	s_or_b32 exec_lo, exec_lo, s22
	s_delay_alu instid0(SALU_CYCLE_1)
	s_and_b32 s21, s21, exec_lo
.LBB6_315:                              ;   in Loop: Header=BB6_231 Depth=1
	s_or_b32 exec_lo, exec_lo, s20
	s_and_saveexec_b32 s7, s21
	s_cbranch_execz .LBB6_324
.LBB6_316:                              ;   in Loop: Header=BB6_231 Depth=1
	v_ashrrev_i32_e32 v67, 31, v83
	s_mov_b32 s20, exec_lo
	s_delay_alu instid0(VALU_DEP_1) | instskip(NEXT) | instid1(VALU_DEP_1)
	v_lshrrev_b32_e32 v67, 22, v67
	v_add_nc_u32_e32 v67, v83, v67
	s_delay_alu instid0(VALU_DEP_1) | instskip(NEXT) | instid1(VALU_DEP_1)
	v_dual_ashrrev_i32 v97, 10, v67 :: v_dual_ashrrev_i32 v67, 31, v86
	v_dual_sub_nc_u32 v87, v97, v66 :: v_dual_lshrrev_b32 v96, 27, v67
	s_delay_alu instid0(VALU_DEP_1)
	v_cmpx_lt_i32_e32 0, v87
	s_cbranch_execz .LBB6_320
; %bb.317:                              ;   in Loop: Header=BB6_231 Depth=1
	s_delay_alu instid0(VALU_DEP_2) | instskip(SKIP_4) | instid1(VALU_DEP_1)
	v_dual_add_nc_u32 v67, v86, v96 :: v_dual_lshlrev_b32 v66, 10, v66
	s_trap 2
	ds_load_b64 v[68:69], v0
	s_mov_b32 s21, 0
	v_and_b32_e32 v67, 0x1fffffe0, v67
	v_sub_nc_u32_e32 v67, v86, v67
	s_delay_alu instid0(VALU_DEP_1) | instskip(NEXT) | instid1(VALU_DEP_1)
	v_lshlrev_b32_e32 v67, 3, v67
	v_add3_u32 v70, v67, v85, v66
	s_delay_alu instid0(VALU_DEP_1) | instskip(NEXT) | instid1(VALU_DEP_1)
	v_ashrrev_i32_e32 v71, 31, v70
	v_add_nc_u64_e32 v[66:67], v[70:71], v[54:55]
	s_wait_dscnt 0x0
	v_add_nc_u64_e32 v[68:69], v[68:69], v[70:71]
	v_add_nc_u64_e32 v[70:71], v[70:71], v[64:65]
.LBB6_318:                              ;   Parent Loop BB6_231 Depth=1
                                        ; =>  This Inner Loop Header: Depth=2
	s_clause 0x3
	flat_load_b64 v[98:99], v[66:67] th:TH_LOAD_NT
	flat_load_b64 v[100:101], v[66:67] offset:256 th:TH_LOAD_NT
	flat_load_b64 v[102:103], v[66:67] offset:512 th:TH_LOAD_NT
	;; [unrolled: 1-line block ×3, first 2 shown]
	s_clause 0x3
	flat_load_b64 v[114:115], v[68:69] th:TH_LOAD_NT
	flat_load_b64 v[116:117], v[68:69] offset:256 th:TH_LOAD_NT
	flat_load_b64 v[118:119], v[68:69] offset:512 th:TH_LOAD_NT
	flat_load_b64 v[40:41], v[68:69] offset:768 th:TH_LOAD_NT
	v_sub_nc_u32_e32 v87, v87, v26
	s_wait_xcnt 0x4
	v_add_nc_u64_e32 v[66:67], v[66:67], v[36:37]
	s_wait_xcnt 0x0
	v_add_nc_u64_e32 v[68:69], v[68:69], v[36:37]
	v_cmp_gt_i32_e32 vcc_lo, 1, v87
	s_or_b32 s21, vcc_lo, s21
	s_wait_loadcnt_dscnt 0x303
	v_mul_u64_e32 v[98:99], v[114:115], v[98:99]
	s_wait_loadcnt_dscnt 0x202
	v_mul_u64_e32 v[100:101], v[116:117], v[100:101]
	;; [unrolled: 2-line block ×4, first 2 shown]
	s_clause 0x3
	flat_store_b64 v[70:71], v[98:99] th:TH_STORE_NT
	flat_store_b64 v[70:71], v[100:101] offset:256 th:TH_STORE_NT
	flat_store_b64 v[70:71], v[102:103] offset:512 th:TH_STORE_NT
	flat_store_b64 v[70:71], v[112:113] offset:768 th:TH_STORE_NT
	s_wait_xcnt 0x0
	v_add_nc_u64_e32 v[70:71], v[70:71], v[36:37]
	s_and_not1_b32 exec_lo, exec_lo, s21
	s_cbranch_execnz .LBB6_318
; %bb.319:                              ;   in Loop: Header=BB6_231 Depth=1
	s_or_b32 exec_lo, exec_lo, s21
.LBB6_320:                              ;   in Loop: Header=BB6_231 Depth=1
	s_delay_alu instid0(SALU_CYCLE_1) | instskip(SKIP_1) | instid1(VALU_DEP_1)
	s_or_b32 exec_lo, exec_lo, s20
	v_lshlrev_b32_e32 v66, 10, v97
	v_cmp_ne_u32_e32 vcc_lo, v83, v66
	s_and_b32 exec_lo, exec_lo, vcc_lo
	s_cbranch_execz .LBB6_324
; %bb.321:                              ;   in Loop: Header=BB6_231 Depth=1
	v_dual_add_nc_u32 v67, v86, v96 :: v_dual_lshlrev_b32 v68, 5, v87
	s_delay_alu instid0(VALU_DEP_1) | instskip(NEXT) | instid1(VALU_DEP_1)
	v_and_b32_e32 v67, 0xffffffe0, v67
	v_sub_nc_u32_e32 v67, v86, v67
	s_delay_alu instid0(VALU_DEP_1) | instskip(NEXT) | instid1(VALU_DEP_1)
	v_sub_nc_u32_e32 v67, v67, v68
	v_ashrrev_i32_e32 v68, 31, v67
	s_delay_alu instid0(VALU_DEP_1) | instskip(NEXT) | instid1(VALU_DEP_1)
	v_lshrrev_b32_e32 v68, 27, v68
	v_add_nc_u32_e32 v68, v67, v68
	s_delay_alu instid0(VALU_DEP_1) | instskip(NEXT) | instid1(VALU_DEP_1)
	v_and_b32_e32 v69, 0x1fffffe0, v68
	v_dual_lshlrev_b32 v68, 3, v68 :: v_dual_sub_nc_u32 v67, v67, v69
	s_delay_alu instid0(VALU_DEP_1) | instskip(NEXT) | instid1(VALU_DEP_2)
	v_and_b32_e32 v68, 0xffffff00, v68
	v_lshlrev_b32_e32 v67, 3, v67
	s_delay_alu instid0(VALU_DEP_1) | instskip(NEXT) | instid1(VALU_DEP_1)
	v_add3_u32 v66, v68, v67, v66
	v_sub_nc_u32_e32 v68, v83, v66
	s_delay_alu instid0(VALU_DEP_1)
	v_cmp_lt_i32_e32 vcc_lo, 7, v68
	s_and_b32 exec_lo, exec_lo, vcc_lo
	s_cbranch_execz .LBB6_324
; %bb.322:                              ;   in Loop: Header=BB6_231 Depth=1
	s_trap 2
	ds_load_b64 v[70:71], v0
	v_add_nc_u32_e32 v86, v66, v85
	s_mov_b32 s20, 0
	s_delay_alu instid0(VALU_DEP_1) | instskip(NEXT) | instid1(VALU_DEP_1)
	v_ashrrev_i32_e32 v87, 31, v86
	v_add_nc_u64_e32 v[54:55], v[86:87], v[54:55]
	v_add_nc_u64_e32 v[64:65], v[86:87], v[64:65]
	s_wait_dscnt 0x0
	v_add_nc_u64_e32 v[66:67], v[70:71], v[86:87]
.LBB6_323:                              ;   Parent Loop BB6_231 Depth=1
                                        ; =>  This Inner Loop Header: Depth=2
	flat_load_b64 v[70:71], v[54:55] th:TH_LOAD_NT
	flat_load_b64 v[86:87], v[66:67] th:TH_LOAD_NT
	v_sub_nc_u32_e32 v68, v68, v48
	s_wait_xcnt 0x1
	v_add_nc_u64_e32 v[54:55], v[54:55], v[48:49]
	s_wait_xcnt 0x0
	v_add_nc_u64_e32 v[66:67], v[66:67], v[48:49]
	v_cmp_gt_i32_e32 vcc_lo, 8, v68
	s_or_b32 s20, vcc_lo, s20
	s_wait_loadcnt_dscnt 0x0
	v_mul_u64_e32 v[70:71], v[86:87], v[70:71]
	flat_store_b64 v[64:65], v[70:71] th:TH_STORE_NT
	s_wait_xcnt 0x0
	v_add_nc_u64_e32 v[64:65], v[64:65], v[48:49]
	s_and_not1_b32 exec_lo, exec_lo, s20
	s_cbranch_execnz .LBB6_323
.LBB6_324:                              ;   in Loop: Header=BB6_231 Depth=1
	s_or_b32 exec_lo, exec_lo, s7
	v_cmp_ne_u32_e64 s7, 0, v28
	s_and_saveexec_b32 s20, s2
	s_cbranch_execz .LBB6_343
.LBB6_325:                              ;   in Loop: Header=BB6_231 Depth=1
	s_and_saveexec_b32 s21, s3
	s_delay_alu instid0(SALU_CYCLE_1)
	s_xor_b32 s21, exec_lo, s21
	s_cbranch_execz .LBB6_340
; %bb.326:                              ;   in Loop: Header=BB6_231 Depth=1
	s_and_saveexec_b32 s22, s4
	s_cbranch_execz .LBB6_339
; %bb.327:                              ;   in Loop: Header=BB6_231 Depth=1
	s_mov_b32 s24, exec_lo
	s_mov_b32 s23, exec_lo
	v_mbcnt_lo_u32_b32 v28, s24, 0
	global_wb scope:SCOPE_DEV
	s_wait_storecnt 0x0
	s_wait_loadcnt_dscnt 0x0
	global_inv scope:SCOPE_DEV
	v_cmpx_eq_u32_e32 0, v28
	s_cbranch_execz .LBB6_329
; %bb.328:                              ;   in Loop: Header=BB6_231 Depth=1
	s_bcnt1_i32_b32 s24, s24
	s_delay_alu instid0(SALU_CYCLE_1)
	v_mov_b32_e32 v28, s24
	s_wait_loadcnt 0x0
	ds_add_u64 v0, v[28:29]
	s_trap 2
.LBB6_329:                              ;   in Loop: Header=BB6_231 Depth=1
	s_or_b32 exec_lo, exec_lo, s23
	s_trap 2
	ds_load_b64 v[54:55], v0
	s_wait_dscnt 0x0
	v_add_nc_u64_e32 v[10:11], v[10:11], v[26:27]
	s_mov_b32 s23, exec_lo
	s_delay_alu instid0(VALU_DEP_1)
	v_cmpx_lt_u64_e64 v[54:55], v[10:11]
	s_cbranch_execz .LBB6_338
; %bb.330:                              ;   in Loop: Header=BB6_231 Depth=1
	s_mov_b32 s24, 0
	s_mov_b32 s27, 0
                                        ; implicit-def: $sgpr25
                                        ; implicit-def: $sgpr26
	s_branch .LBB6_332
.LBB6_331:                              ;   in Loop: Header=BB6_332 Depth=2
	s_or_b32 exec_lo, exec_lo, s29
	s_delay_alu instid0(SALU_CYCLE_1) | instskip(NEXT) | instid1(SALU_CYCLE_1)
	s_and_b32 s28, exec_lo, s40
	s_or_b32 s24, s28, s24
	s_and_not1_b32 s25, s25, exec_lo
	s_and_b32 s28, s26, exec_lo
	s_delay_alu instid0(SALU_CYCLE_1)
	s_or_b32 s25, s25, s28
	s_and_not1_b32 exec_lo, exec_lo, s24
	s_cbranch_execz .LBB6_336
.LBB6_332:                              ;   Parent Loop BB6_231 Depth=1
                                        ; =>  This Inner Loop Header: Depth=2
	s_add_co_i32 s27, s27, 1
	s_delay_alu instid0(SALU_CYCLE_1) | instskip(SKIP_1) | instid1(SALU_CYCLE_1)
	s_cmp_lg_u32 s27, 0x2710
	s_cselect_b32 s28, -1, 0
	s_and_b32 vcc_lo, exec_lo, s28
	s_cbranch_vccz .LBB6_334
; %bb.333:                              ;   in Loop: Header=BB6_332 Depth=2
	s_mov_b32 s40, -1
	s_or_b32 s26, s26, exec_lo
	s_and_saveexec_b32 s29, s28
	s_cbranch_execz .LBB6_331
	s_branch .LBB6_335
.LBB6_334:                              ;   in Loop: Header=BB6_332 Depth=2
	s_trap 2
	ds_load_b64 v[54:55], v0
	s_and_not1_b32 s28, s28, exec_lo
	s_mov_b32 s27, 0
	s_wait_loadcnt_dscnt 0x0
	flat_load_b32 v28, v[54:55] scope:SCOPE_SYS
	s_wait_loadcnt_dscnt 0x0
	global_inv scope:SCOPE_SYS
	v_cmp_eq_u32_e32 vcc_lo, 0, v28
	s_and_b32 s29, vcc_lo, exec_lo
	s_delay_alu instid0(SALU_CYCLE_1)
	s_or_b32 s28, s28, s29
	s_mov_b32 s40, -1
	s_or_b32 s26, s26, exec_lo
	s_and_saveexec_b32 s29, s28
	s_cbranch_execz .LBB6_331
.LBB6_335:                              ;   in Loop: Header=BB6_332 Depth=2
	s_sleep 1
	s_trap 2
	ds_load_b64 v[54:55], v0
	s_wait_dscnt 0x0
	s_and_not1_b32 s26, s26, exec_lo
	v_cmp_ge_u64_e32 vcc_lo, v[54:55], v[10:11]
	s_or_not1_b32 s40, vcc_lo, exec_lo
	s_branch .LBB6_331
.LBB6_336:                              ;   in Loop: Header=BB6_231 Depth=1
	s_or_b32 exec_lo, exec_lo, s24
	s_and_saveexec_b32 s24, s25
	s_delay_alu instid0(SALU_CYCLE_1)
	s_xor_b32 s24, exec_lo, s24
	s_cbranch_execz .LBB6_338
; %bb.337:                              ;   in Loop: Header=BB6_231 Depth=1
	ds_store_b32 v0, v82
	s_trap 2
.LBB6_338:                              ;   in Loop: Header=BB6_231 Depth=1
	s_or_b32 exec_lo, exec_lo, s23
	;;#ASMSTART
	s_wakeup
	;;#ASMEND
.LBB6_339:                              ;   in Loop: Header=BB6_231 Depth=1
	s_or_b32 exec_lo, exec_lo, s22
.LBB6_340:                              ;   in Loop: Header=BB6_231 Depth=1
	s_and_not1_saveexec_b32 s21, s21
	s_cbranch_execz .LBB6_342
; %bb.341:                              ;   in Loop: Header=BB6_231 Depth=1
	global_wb scope:SCOPE_DEV
	s_wait_storecnt 0x0
	s_wait_loadcnt_dscnt 0x0
	global_inv scope:SCOPE_DEV
	s_barrier_signal -1
	s_barrier_wait -1
.LBB6_342:                              ;   in Loop: Header=BB6_231 Depth=1
	s_or_b32 exec_lo, exec_lo, s21
.LBB6_343:                              ;   in Loop: Header=BB6_231 Depth=1
	s_delay_alu instid0(SALU_CYCLE_1) | instskip(SKIP_1) | instid1(VALU_DEP_1)
	s_or_b32 exec_lo, exec_lo, s20
	v_and_b32_e32 v28, 16, v30
	v_cmp_ne_u32_e32 vcc_lo, 0, v28
	s_and_b32 s20, vcc_lo, s7
	s_delay_alu instid0(SALU_CYCLE_1)
	s_and_saveexec_b32 s7, s20
	s_cbranch_execz .LBB6_345
; %bb.344:                              ;   in Loop: Header=BB6_231 Depth=1
	global_wb scope:SCOPE_SYS
	s_wait_storecnt 0x0
	s_wait_loadcnt_dscnt 0x0
	global_inv scope:SCOPE_SYS
.LBB6_345:                              ;   in Loop: Header=BB6_231 Depth=1
	s_or_b32 exec_lo, exec_lo, s7
	v_and_b32_e32 v28, 32, v30
	s_mov_b32 s7, exec_lo
	s_delay_alu instid0(VALU_DEP_1)
	v_cmpx_ne_u32_e32 0, v28
	s_cbranch_execz .LBB6_347
; %bb.346:                              ;   in Loop: Header=BB6_231 Depth=1
	v_add_nc_u64_e32 v[8:9], 1, v[8:9]
	global_wb scope:SCOPE_SYS
	s_wait_storecnt 0x0
	s_wait_loadcnt_dscnt 0x0
	flat_store_b64 v[18:19], v[8:9] scope:SCOPE_SYS
.LBB6_347:                              ;   in Loop: Header=BB6_231 Depth=1
	s_wait_xcnt 0x0
	s_or_b32 exec_lo, exec_lo, s7
	v_mov_b32_e32 v66, v53
.LBB6_348:                              ;   in Loop: Header=BB6_231 Depth=1
	s_or_b32 exec_lo, exec_lo, s19
	s_and_saveexec_b32 s19, s18
	s_cbranch_execz .LBB6_230
; %bb.349:                              ;   in Loop: Header=BB6_231 Depth=1
	v_and_b32_e32 v28, 4, v30
	s_mov_b32 s18, exec_lo
	s_delay_alu instid0(VALU_DEP_1)
	v_cmpx_ne_u32_e32 0, v28
	s_cbranch_execz .LBB6_371
; %bb.350:                              ;   in Loop: Header=BB6_231 Depth=1
	v_add_nc_u64_e32 v[54:55], 1, v[8:9]
	s_mov_b32 s20, exec_lo
	s_wait_loadcnt 0x0
	s_delay_alu instid0(VALU_DEP_1)
	v_cmpx_lt_u64_e64 v[24:25], v[54:55]
	s_cbranch_execz .LBB6_362
; %bb.351:                              ;   in Loop: Header=BB6_231 Depth=1
	v_and_b32_e32 v9, 64, v30
	s_mov_b32 s21, 0
	s_mov_b32 s25, 0
                                        ; implicit-def: $sgpr22
                                        ; implicit-def: $sgpr23
                                        ; implicit-def: $sgpr24
	s_delay_alu instid0(VALU_DEP_1)
	v_cmp_eq_u32_e32 vcc_lo, 0, v9
	s_branch .LBB6_355
.LBB6_352:                              ;   in Loop: Header=BB6_355 Depth=2
	s_wait_loadcnt_dscnt 0x0
	v_cmp_ge_u64_e64 s7, v[24:25], v[54:55]
	s_or_b32 s28, s28, exec_lo
	s_or_not1_b32 s27, s7, exec_lo
.LBB6_353:                              ;   in Loop: Header=BB6_355 Depth=2
	s_or_b32 exec_lo, exec_lo, s40
	s_delay_alu instid0(SALU_CYCLE_1)
	s_and_not1_b32 s7, s24, exec_lo
	s_and_b32 s24, s28, exec_lo
	s_and_not1_b32 s23, s23, exec_lo
	s_and_b32 s27, s27, exec_lo
	s_or_b32 s24, s7, s24
	s_or_b32 s23, s23, s27
.LBB6_354:                              ;   in Loop: Header=BB6_355 Depth=2
	s_or_b32 exec_lo, exec_lo, s26
	s_delay_alu instid0(SALU_CYCLE_1) | instskip(NEXT) | instid1(SALU_CYCLE_1)
	s_and_b32 s7, exec_lo, s23
	s_or_b32 s21, s7, s21
	s_and_not1_b32 s7, s22, exec_lo
	s_and_b32 s22, s24, exec_lo
	s_delay_alu instid0(SALU_CYCLE_1)
	s_or_b32 s22, s7, s22
	s_and_not1_b32 exec_lo, exec_lo, s21
	s_cbranch_execz .LBB6_359
.LBB6_355:                              ;   Parent Loop BB6_231 Depth=1
                                        ; =>  This Inner Loop Header: Depth=2
	s_sleep 1
	s_wait_loadcnt_dscnt 0x0
	flat_load_b64 v[24:25], v[18:19] scope:SCOPE_SYS
	s_or_b32 s24, s24, exec_lo
	s_or_b32 s23, s23, exec_lo
                                        ; implicit-def: $vgpr9
	s_wait_xcnt 0x0
	s_and_saveexec_b32 s26, vcc_lo
	s_cbranch_execz .LBB6_354
; %bb.356:                              ;   in Loop: Header=BB6_355 Depth=2
	s_cmp_lt_i32 s25, 0x270f
	s_mov_b32 s27, -1
	s_cselect_b32 s29, -1, 0
	s_cmp_gt_i32 s25, 0x270e
	s_cbranch_scc0 .LBB6_358
; %bb.357:                              ;   in Loop: Header=BB6_355 Depth=2
	s_trap 2
	ds_load_b64 v[64:65], v0
	s_and_not1_b32 s25, s29, exec_lo
	s_mov_b32 s28, 0
	s_wait_storecnt 0x0
	s_wait_loadcnt_dscnt 0x0
	flat_load_b32 v9, v[64:65] scope:SCOPE_SYS
	s_wait_loadcnt_dscnt 0x0
	global_inv scope:SCOPE_SYS
	v_cmp_eq_u32_e64 s7, 0, v9
	s_and_b32 s7, s7, exec_lo
	s_delay_alu instid0(SALU_CYCLE_1)
	s_or_b32 s29, s25, s7
	s_mov_b32 s25, 0
	s_and_saveexec_b32 s40, s29
	s_cbranch_execz .LBB6_353
	s_branch .LBB6_352
.LBB6_358:                              ;   in Loop: Header=BB6_355 Depth=2
	s_add_co_i32 s25, s25, 1
	s_mov_b32 s28, -1
                                        ; implicit-def: $vgpr9
	s_and_saveexec_b32 s40, s29
	s_cbranch_execz .LBB6_353
	s_branch .LBB6_352
.LBB6_359:                              ;   in Loop: Header=BB6_231 Depth=1
	s_or_b32 exec_lo, exec_lo, s21
	s_xor_b32 s7, s22, -1
	s_delay_alu instid0(SALU_CYCLE_1) | instskip(NEXT) | instid1(SALU_CYCLE_1)
	s_and_saveexec_b32 s21, s7
	s_xor_b32 s7, exec_lo, s21
	s_cbranch_execz .LBB6_361
; %bb.360:                              ;   in Loop: Header=BB6_231 Depth=1
	v_or_b32_e32 v30, 64, v30
	s_wait_storecnt 0x0
	s_wait_loadcnt_dscnt 0x0
	ds_store_b32 v0, v9
	s_trap 2
.LBB6_361:                              ;   in Loop: Header=BB6_231 Depth=1
	s_or_b32 exec_lo, exec_lo, s7
.LBB6_362:                              ;   in Loop: Header=BB6_231 Depth=1
	s_delay_alu instid0(SALU_CYCLE_1) | instskip(SKIP_4) | instid1(VALU_DEP_2)
	s_or_b32 exec_lo, exec_lo, s20
	v_and_b32_e32 v9, 0x100, v30
	v_and_b32_e32 v28, 7, v8
	s_mov_b32 s7, -1
	;;#ASMSTART
	s_wakeup
	;;#ASMEND
	v_cmp_ne_u32_e32 vcc_lo, 0, v9
                                        ; implicit-def: $vgpr8_vgpr9
	s_and_saveexec_b32 s20, vcc_lo
	s_cbranch_execz .LBB6_366
; %bb.363:                              ;   in Loop: Header=BB6_231 Depth=1
	v_mad_nc_u64_u32 v[64:65], v28, 24, v[6:7]
	flat_load_b32 v8, v[64:65]
	s_wait_loadcnt_dscnt 0x0
	v_cmp_eq_u32_e64 s7, 1, v8
	v_cmp_ne_u32_e32 vcc_lo, 1, v8
                                        ; implicit-def: $vgpr8_vgpr9
	s_wait_xcnt 0x0
	s_and_saveexec_b32 s21, s7
	s_cbranch_execz .LBB6_365
; %bb.364:                              ;   in Loop: Header=BB6_231 Depth=1
	flat_load_b32 v8, v[64:65] offset:4 scope:SCOPE_SYS
	s_wait_loadcnt_dscnt 0x0
	v_ashrrev_i32_e32 v9, 31, v8
	s_delay_alu instid0(VALU_DEP_1)
	v_lshrrev_b64 v[8:9], 3, v[8:9]
.LBB6_365:                              ;   in Loop: Header=BB6_231 Depth=1
	s_wait_xcnt 0x0
	s_or_b32 exec_lo, exec_lo, s21
	s_delay_alu instid0(SALU_CYCLE_1)
	s_or_not1_b32 s7, vcc_lo, exec_lo
.LBB6_366:                              ;   in Loop: Header=BB6_231 Depth=1
	s_or_b32 exec_lo, exec_lo, s20
	s_and_saveexec_b32 s20, s7
; %bb.367:                              ;   in Loop: Header=BB6_231 Depth=1
	v_mul_u64_e32 v[8:9], v[28:29], v[20:21]
; %bb.368:                              ;   in Loop: Header=BB6_231 Depth=1
	s_or_b32 exec_lo, exec_lo, s20
	v_and_b32_e32 v28, 0x2000, v30
	s_delay_alu instid0(VALU_DEP_2)
	v_lshl_add_u64 v[8:9], v[8:9], 3, v[22:23]
	s_mov_b32 s7, exec_lo
	ds_store_b64 v0, v[8:9] offset:728
	v_cmpx_ne_u32_e32 0, v28
	s_cbranch_execz .LBB6_370
; %bb.369:                              ;   in Loop: Header=BB6_231 Depth=1
	ds_load_b64 v[8:9], v0 offset:872
	s_wait_dscnt 0x0
	v_add_nc_u64_e32 v[8:9], 1, v[8:9]
	ds_store_b64 v0, v[8:9] offset:872
.LBB6_370:                              ;   in Loop: Header=BB6_231 Depth=1
	s_or_b32 exec_lo, exec_lo, s7
	v_mov_b64_e32 v[8:9], v[54:55]
.LBB6_371:                              ;   in Loop: Header=BB6_231 Depth=1
	s_or_b32 exec_lo, exec_lo, s18
	s_and_saveexec_b32 s7, s2
	s_cbranch_execz .LBB6_390
; %bb.372:                              ;   in Loop: Header=BB6_231 Depth=1
	s_and_saveexec_b32 s18, s3
	s_delay_alu instid0(SALU_CYCLE_1)
	s_xor_b32 s18, exec_lo, s18
	s_cbranch_execz .LBB6_387
; %bb.373:                              ;   in Loop: Header=BB6_231 Depth=1
	s_and_saveexec_b32 s20, s4
	s_cbranch_execz .LBB6_386
; %bb.374:                              ;   in Loop: Header=BB6_231 Depth=1
	s_mov_b32 s22, exec_lo
	s_mov_b32 s21, exec_lo
	v_mbcnt_lo_u32_b32 v28, s22, 0
	global_wb scope:SCOPE_DEV
	s_wait_storecnt 0x0
	s_wait_loadcnt_dscnt 0x0
	global_inv scope:SCOPE_DEV
	v_cmpx_eq_u32_e32 0, v28
	s_cbranch_execz .LBB6_376
; %bb.375:                              ;   in Loop: Header=BB6_231 Depth=1
	s_bcnt1_i32_b32 s22, s22
	s_delay_alu instid0(SALU_CYCLE_1)
	v_mov_b32_e32 v28, s22
	s_wait_loadcnt 0x0
	ds_add_u64 v0, v[28:29]
	s_trap 2
.LBB6_376:                              ;   in Loop: Header=BB6_231 Depth=1
	s_or_b32 exec_lo, exec_lo, s21
	s_trap 2
	ds_load_b64 v[54:55], v0
	s_wait_dscnt 0x0
	v_add_nc_u64_e32 v[10:11], v[10:11], v[26:27]
	s_mov_b32 s21, exec_lo
	s_delay_alu instid0(VALU_DEP_1)
	v_cmpx_lt_u64_e64 v[54:55], v[10:11]
	s_cbranch_execz .LBB6_385
; %bb.377:                              ;   in Loop: Header=BB6_231 Depth=1
	s_mov_b32 s22, 0
	s_mov_b32 s25, 0
                                        ; implicit-def: $sgpr23
                                        ; implicit-def: $sgpr24
	s_branch .LBB6_379
.LBB6_378:                              ;   in Loop: Header=BB6_379 Depth=2
	s_or_b32 exec_lo, exec_lo, s27
	s_delay_alu instid0(SALU_CYCLE_1) | instskip(NEXT) | instid1(SALU_CYCLE_1)
	s_and_b32 s26, exec_lo, s28
	s_or_b32 s22, s26, s22
	s_and_not1_b32 s23, s23, exec_lo
	s_and_b32 s26, s24, exec_lo
	s_delay_alu instid0(SALU_CYCLE_1)
	s_or_b32 s23, s23, s26
	s_and_not1_b32 exec_lo, exec_lo, s22
	s_cbranch_execz .LBB6_383
.LBB6_379:                              ;   Parent Loop BB6_231 Depth=1
                                        ; =>  This Inner Loop Header: Depth=2
	s_add_co_i32 s25, s25, 1
	s_delay_alu instid0(SALU_CYCLE_1) | instskip(SKIP_1) | instid1(SALU_CYCLE_1)
	s_cmp_lg_u32 s25, 0x2710
	s_cselect_b32 s26, -1, 0
	s_and_b32 vcc_lo, exec_lo, s26
	s_cbranch_vccz .LBB6_381
; %bb.380:                              ;   in Loop: Header=BB6_379 Depth=2
	s_mov_b32 s28, -1
	s_or_b32 s24, s24, exec_lo
	s_and_saveexec_b32 s27, s26
	s_cbranch_execz .LBB6_378
	s_branch .LBB6_382
.LBB6_381:                              ;   in Loop: Header=BB6_379 Depth=2
	s_trap 2
	ds_load_b64 v[54:55], v0
	s_and_not1_b32 s26, s26, exec_lo
	s_mov_b32 s25, 0
	s_wait_loadcnt_dscnt 0x0
	flat_load_b32 v28, v[54:55] scope:SCOPE_SYS
	s_wait_loadcnt_dscnt 0x0
	global_inv scope:SCOPE_SYS
	v_cmp_eq_u32_e32 vcc_lo, 0, v28
	s_and_b32 s27, vcc_lo, exec_lo
	s_delay_alu instid0(SALU_CYCLE_1)
	s_or_b32 s26, s26, s27
	s_mov_b32 s28, -1
	s_or_b32 s24, s24, exec_lo
	s_and_saveexec_b32 s27, s26
	s_cbranch_execz .LBB6_378
.LBB6_382:                              ;   in Loop: Header=BB6_379 Depth=2
	s_sleep 1
	s_trap 2
	ds_load_b64 v[54:55], v0
	s_wait_dscnt 0x0
	s_and_not1_b32 s24, s24, exec_lo
	v_cmp_ge_u64_e32 vcc_lo, v[54:55], v[10:11]
	s_or_not1_b32 s28, vcc_lo, exec_lo
	s_branch .LBB6_378
.LBB6_383:                              ;   in Loop: Header=BB6_231 Depth=1
	s_or_b32 exec_lo, exec_lo, s22
	s_and_saveexec_b32 s22, s23
	s_delay_alu instid0(SALU_CYCLE_1)
	s_xor_b32 s22, exec_lo, s22
	s_cbranch_execz .LBB6_385
; %bb.384:                              ;   in Loop: Header=BB6_231 Depth=1
	ds_store_b32 v0, v82
	s_trap 2
.LBB6_385:                              ;   in Loop: Header=BB6_231 Depth=1
	s_or_b32 exec_lo, exec_lo, s21
	;;#ASMSTART
	s_wakeup
	;;#ASMEND
.LBB6_386:                              ;   in Loop: Header=BB6_231 Depth=1
	s_or_b32 exec_lo, exec_lo, s20
.LBB6_387:                              ;   in Loop: Header=BB6_231 Depth=1
	s_and_not1_saveexec_b32 s18, s18
	s_cbranch_execz .LBB6_389
; %bb.388:                              ;   in Loop: Header=BB6_231 Depth=1
	global_wb scope:SCOPE_DEV
	s_wait_storecnt 0x0
	s_wait_loadcnt_dscnt 0x0
	global_inv scope:SCOPE_DEV
	s_barrier_signal -1
	s_barrier_wait -1
.LBB6_389:                              ;   in Loop: Header=BB6_231 Depth=1
	s_or_b32 exec_lo, exec_lo, s18
.LBB6_390:                              ;   in Loop: Header=BB6_231 Depth=1
	s_delay_alu instid0(SALU_CYCLE_1) | instskip(SKIP_3) | instid1(VALU_DEP_1)
	s_or_b32 exec_lo, exec_lo, s7
	s_trap 2
	ds_load_b32 v28, v0
	v_sub_nc_u32_e32 v52, v52, v66
	v_min_i32_e32 v52, v53, v52
	s_delay_alu instid0(VALU_DEP_1) | instskip(SKIP_4) | instid1(VALU_DEP_1)
	v_cmp_lt_i32_e32 vcc_lo, 0, v52
	s_wait_dscnt 0x0
	v_readfirstlane_b32 s7, v28
	v_and_b32_e32 v28, 16, v30
	s_cmp_eq_u32 s7, 0
	v_cmp_ne_u32_e64 s7, 0, v28
	s_cselect_b32 s18, -1, 0
	s_delay_alu instid0(SALU_CYCLE_1) | instskip(NEXT) | instid1(SALU_CYCLE_1)
	s_and_b32 s18, vcc_lo, s18
	s_and_b32 s18, s7, s18
	s_delay_alu instid0(SALU_CYCLE_1)
	s_and_saveexec_b32 s7, s18
	s_cbranch_execz .LBB6_392
; %bb.391:                              ;   in Loop: Header=BB6_231 Depth=1
	global_wb scope:SCOPE_SYS
	s_wait_loadcnt 0x0
	s_wait_storecnt 0x0
	global_inv scope:SCOPE_SYS
.LBB6_392:                              ;   in Loop: Header=BB6_231 Depth=1
	s_or_b32 exec_lo, exec_lo, s7
	v_and_b32_e32 v28, 32, v30
	s_mov_b32 s7, exec_lo
	s_delay_alu instid0(VALU_DEP_1)
	v_cmpx_ne_u32_e32 0, v28
	s_cbranch_execz .LBB6_229
; %bb.393:                              ;   in Loop: Header=BB6_231 Depth=1
	v_add_nc_u64_e32 v[8:9], 1, v[8:9]
	global_wb scope:SCOPE_SYS
	s_wait_loadcnt 0x0
	s_wait_storecnt 0x0
	flat_store_b64 v[18:19], v[8:9] scope:SCOPE_SYS
	s_branch .LBB6_229
.LBB6_394:
	s_or_b32 exec_lo, exec_lo, s15
.LBB6_395:
	s_delay_alu instid0(SALU_CYCLE_1)
	s_or_b32 exec_lo, exec_lo, s14
.LBB6_396:
	s_delay_alu instid0(SALU_CYCLE_1)
	s_or_b32 exec_lo, exec_lo, s13
                                        ; implicit-def: $vgpr14_vgpr15
                                        ; implicit-def: $vgpr4_vgpr5
                                        ; implicit-def: $vgpr26_vgpr27
                                        ; implicit-def: $vgpr20
                                        ; implicit-def: $vgpr24_vgpr25
                                        ; implicit-def: $vgpr22_vgpr23
                                        ; implicit-def: $vgpr18_vgpr19
                                        ; implicit-def: $vgpr0
                                        ; implicit-def: $vgpr51
                                        ; implicit-def: $vgpr12_vgpr13
.LBB6_397:
	s_and_not1_saveexec_b32 s12, s12
	s_cbranch_execz .LBB6_573
; %bb.398:
	v_mov_b64_e32 v[10:11], 0
	s_mov_b32 s13, exec_lo
	v_cmpx_ne_u64_e32 0, v[4:5]
	s_cbranch_execz .LBB6_572
; %bb.399:
	v_dual_ashrrev_i32 v10, 31, v0 :: v_dual_bitop2_b32 v11, 31, v31 bitop3:0x40
	v_dual_ashrrev_i32 v21, 31, v20 :: v_dual_mov_b32 v33, 0
	s_delay_alu instid0(VALU_DEP_2)
	v_dual_lshlrev_b32 v32, 3, v1 :: v_dual_lshrrev_b32 v10, 27, v10
	s_lshr_b32 s4, s10, 27
	v_cmp_eq_u32_e32 vcc_lo, 32, v1
	s_add_co_i32 s10, s10, s4
	v_cmp_eq_u32_e64 s4, 0, v11
	v_dual_add_nc_u32 v10, v0, v10 :: v_dual_lshrrev_b32 v28, 5, v1
	v_mov_b64_e32 v[52:53], 0
	s_wait_dscnt 0x1
	v_cmp_ne_u64_e64 s7, 0, v[26:27]
	v_mov_b64_e32 v[54:55], 0
	s_wait_dscnt 0x0
	v_and_b32_e32 v35, 0xffffffe0, v10
	v_dual_ashrrev_i32 v85, 5, v10 :: v_dual_mov_b32 v29, v33
	v_lshlrev_b32_e32 v34, 12, v28
	v_cmp_ge_i32_e64 s1, v0, v1
	s_delay_alu instid0(VALU_DEP_3)
	v_dual_sub_nc_u32 v86, v0, v35 :: v_dual_lshlrev_b32 v10, 12, v85
	v_mov_b32_e32 v35, v33
	v_cmp_ne_u32_e64 s2, 32, v1
	v_cmp_ne_u32_e64 s3, v1, v84
	v_dual_mov_b32 v37, v33 :: v_dual_lshlrev_b32 v36, 9, v28
	v_lshl_add_u32 v48, v86, 4, v10
	v_mov_b64_e32 v[10:11], 0
	v_dual_mov_b32 v39, v33 :: v_dual_lshlrev_b32 v38, 10, v28
	v_and_b32_e32 v50, 0xff00, v32
	v_cmp_gt_i32_e64 s5, 1, v86
	v_cmp_lt_i32_e64 s6, v86, v51
	v_dual_ashrrev_i32 v49, 31, v48 :: v_dual_mov_b32 v51, v33
	v_mov_b32_e32 v87, 1
	s_ashr_i32 s15, s10, 5
	s_mov_b32 s14, 0
	s_xor_b32 s16, vcc_lo, -1
	s_trap 2
	s_branch .LBB6_403
.LBB6_400:                              ;   in Loop: Header=BB6_403 Depth=1
	s_wait_xcnt 0x0
	s_or_b32 exec_lo, exec_lo, s17
	v_add_nc_u64_e32 v[8:9], 1, v[8:9]
	global_wb scope:SCOPE_SYS
	s_wait_storecnt 0x0
	s_wait_loadcnt_dscnt 0x0
	flat_store_b64 v[18:19], v[8:9] scope:SCOPE_SYS
.LBB6_401:                              ;   in Loop: Header=BB6_403 Depth=1
	s_wait_xcnt 0x0
	s_or_b32 exec_lo, exec_lo, s10
.LBB6_402:                              ;   in Loop: Header=BB6_403 Depth=1
	s_delay_alu instid0(SALU_CYCLE_1) | instskip(SKIP_1) | instid1(VALU_DEP_1)
	s_or_b32 exec_lo, exec_lo, s18
	v_add_nc_u64_e32 v[54:55], v[54:55], v[12:13]
	v_cmp_ge_u64_e32 vcc_lo, v[54:55], v[4:5]
	s_or_b32 s14, vcc_lo, s14
	s_delay_alu instid0(SALU_CYCLE_1)
	s_and_not1_b32 exec_lo, exec_lo, s14
	s_cbranch_execz .LBB6_571
.LBB6_403:                              ; =>This Loop Header: Depth=1
                                        ;     Child Loop BB6_412 Depth 2
                                        ;     Child Loop BB6_436 Depth 2
                                        ;     Child Loop BB6_455 Depth 2
                                        ;     Child Loop BB6_477 Depth 2
                                        ;     Child Loop BB6_482 Depth 2
                                        ;     Child Loop BB6_490 Depth 2
                                        ;     Child Loop BB6_495 Depth 2
                                        ;     Child Loop BB6_504 Depth 2
                                        ;     Child Loop BB6_529 Depth 2
                                        ;     Child Loop BB6_553 Depth 2
	v_sub_nc_u64_e32 v[64:65], v[4:5], v[54:55]
	s_delay_alu instid0(VALU_DEP_1) | instskip(NEXT) | instid1(VALU_DEP_1)
	v_min_u64 v[64:65], v[12:13], v[64:65]
	v_add_nc_u32_e32 v32, 15, v64
	s_delay_alu instid0(VALU_DEP_2) | instskip(NEXT) | instid1(VALU_DEP_2)
	v_cmp_eq_u64_e32 vcc_lo, 0, v[64:65]
	v_and_b32_e32 v32, 0xffffff0, v32
	s_or_b32 s17, s1, vcc_lo
	s_delay_alu instid0(SALU_CYCLE_1) | instskip(NEXT) | instid1(VALU_DEP_1)
	s_xor_b32 s10, s17, -1
	v_dual_mov_b32 v32, 0 :: v_dual_max_i32 v65, s15, v32
	s_and_saveexec_b32 s18, s10
	s_cbranch_execz .LBB6_522
; %bb.404:                              ;   in Loop: Header=BB6_403 Depth=1
	s_and_saveexec_b32 s10, s0
	s_cbranch_execz .LBB6_406
; %bb.405:                              ;   in Loop: Header=BB6_403 Depth=1
	s_trap 2
	ds_load_b64 v[66:67], v0
	s_wait_dscnt 0x0
	v_lshl_add_u64 v[66:67], v[14:15], 3, v[66:67]
	s_delay_alu instid0(VALU_DEP_1)
	v_lshl_add_u64 v[66:67], v[54:55], 3, v[66:67]
	ds_store_b64 v0, v[66:67]
	ds_store_b64 v0, v[52:53]
.LBB6_406:                              ;   in Loop: Header=BB6_403 Depth=1
	s_or_b32 exec_lo, exec_lo, s10
	v_and_b32_e32 v32, 8, v30
	v_min_u32_e32 v65, v65, v64
	s_mov_b32 s19, exec_lo
	s_delay_alu instid0(VALU_DEP_2)
	v_cmpx_ne_u32_e32 0, v32
	s_cbranch_execz .LBB6_428
; %bb.407:                              ;   in Loop: Header=BB6_403 Depth=1
	s_wait_loadcnt 0x0
	v_add_nc_u64_e32 v[68:69], 8, v[24:25]
	v_add_nc_u64_e32 v[66:67], 1, v[8:9]
	s_mov_b32 s20, exec_lo
	s_delay_alu instid0(VALU_DEP_1)
	v_cmpx_lt_u64_e64 v[68:69], v[66:67]
	s_cbranch_execz .LBB6_419
; %bb.408:                              ;   in Loop: Header=BB6_403 Depth=1
	v_and_b32_e32 v9, 64, v30
	s_mov_b32 s21, 0
	s_mov_b32 s25, 0
                                        ; implicit-def: $sgpr22
                                        ; implicit-def: $sgpr23
                                        ; implicit-def: $sgpr24
	s_delay_alu instid0(VALU_DEP_1)
	v_cmp_eq_u32_e32 vcc_lo, 0, v9
	s_branch .LBB6_412
.LBB6_409:                              ;   in Loop: Header=BB6_412 Depth=2
	s_wait_loadcnt_dscnt 0x0
	v_add_nc_u64_e32 v[68:69], 8, v[24:25]
	s_or_b32 s28, s28, exec_lo
	s_delay_alu instid0(VALU_DEP_1)
	v_cmp_ge_u64_e64 s10, v[68:69], v[66:67]
	s_or_not1_b32 s27, s10, exec_lo
.LBB6_410:                              ;   in Loop: Header=BB6_412 Depth=2
	s_or_b32 exec_lo, exec_lo, s40
	s_delay_alu instid0(SALU_CYCLE_1)
	s_and_not1_b32 s10, s24, exec_lo
	s_and_b32 s24, s28, exec_lo
	s_and_not1_b32 s23, s23, exec_lo
	s_and_b32 s27, s27, exec_lo
	s_or_b32 s24, s10, s24
	s_or_b32 s23, s23, s27
.LBB6_411:                              ;   in Loop: Header=BB6_412 Depth=2
	s_or_b32 exec_lo, exec_lo, s26
	s_delay_alu instid0(SALU_CYCLE_1) | instskip(NEXT) | instid1(SALU_CYCLE_1)
	s_and_b32 s10, exec_lo, s23
	s_or_b32 s21, s10, s21
	s_and_not1_b32 s10, s22, exec_lo
	s_and_b32 s22, s24, exec_lo
	s_delay_alu instid0(SALU_CYCLE_1)
	s_or_b32 s22, s10, s22
	s_and_not1_b32 exec_lo, exec_lo, s21
	s_cbranch_execz .LBB6_416
.LBB6_412:                              ;   Parent Loop BB6_403 Depth=1
                                        ; =>  This Inner Loop Header: Depth=2
	s_sleep 1
	s_wait_loadcnt_dscnt 0x0
	flat_load_b64 v[24:25], v[18:19] scope:SCOPE_SYS
	s_or_b32 s24, s24, exec_lo
	s_or_b32 s23, s23, exec_lo
                                        ; implicit-def: $vgpr9
	s_wait_xcnt 0x0
	s_and_saveexec_b32 s26, vcc_lo
	s_cbranch_execz .LBB6_411
; %bb.413:                              ;   in Loop: Header=BB6_412 Depth=2
	s_cmp_lt_i32 s25, 0x270f
	s_mov_b32 s27, -1
	s_cselect_b32 s29, -1, 0
	s_cmp_gt_i32 s25, 0x270e
	s_cbranch_scc0 .LBB6_415
; %bb.414:                              ;   in Loop: Header=BB6_412 Depth=2
	s_trap 2
	ds_load_b64 v[68:69], v0
	s_and_not1_b32 s25, s29, exec_lo
	s_mov_b32 s28, 0
	s_wait_storecnt 0x0
	s_wait_loadcnt_dscnt 0x0
	flat_load_b32 v9, v[68:69] scope:SCOPE_SYS
	s_wait_loadcnt_dscnt 0x0
	global_inv scope:SCOPE_SYS
	v_cmp_eq_u32_e64 s10, 0, v9
	s_and_b32 s10, s10, exec_lo
	s_delay_alu instid0(SALU_CYCLE_1)
	s_or_b32 s29, s25, s10
	s_mov_b32 s25, 0
	s_and_saveexec_b32 s40, s29
	s_cbranch_execz .LBB6_410
	s_branch .LBB6_409
.LBB6_415:                              ;   in Loop: Header=BB6_412 Depth=2
	s_add_co_i32 s25, s25, 1
	s_mov_b32 s28, -1
                                        ; implicit-def: $vgpr9
	s_and_saveexec_b32 s40, s29
	s_cbranch_execz .LBB6_410
	s_branch .LBB6_409
.LBB6_416:                              ;   in Loop: Header=BB6_403 Depth=1
	s_or_b32 exec_lo, exec_lo, s21
	s_xor_b32 s10, s22, -1
	s_delay_alu instid0(SALU_CYCLE_1) | instskip(NEXT) | instid1(SALU_CYCLE_1)
	s_and_saveexec_b32 s21, s10
	s_xor_b32 s10, exec_lo, s21
	s_cbranch_execz .LBB6_418
; %bb.417:                              ;   in Loop: Header=BB6_403 Depth=1
	v_or_b32_e32 v30, 64, v30
	s_wait_storecnt 0x0
	s_wait_loadcnt_dscnt 0x0
	ds_store_b32 v0, v9
	s_trap 2
.LBB6_418:                              ;   in Loop: Header=BB6_403 Depth=1
	s_or_b32 exec_lo, exec_lo, s10
.LBB6_419:                              ;   in Loop: Header=BB6_403 Depth=1
	s_delay_alu instid0(SALU_CYCLE_1) | instskip(SKIP_4) | instid1(VALU_DEP_2)
	s_or_b32 exec_lo, exec_lo, s20
	v_and_b32_e32 v9, 0x100, v30
	v_and_b32_e32 v32, 7, v8
	s_mov_b32 s10, -1
	;;#ASMSTART
	s_wakeup
	;;#ASMEND
	v_cmp_ne_u32_e32 vcc_lo, 0, v9
                                        ; implicit-def: $vgpr8_vgpr9
	s_and_saveexec_b32 s20, vcc_lo
	s_cbranch_execz .LBB6_423
; %bb.420:                              ;   in Loop: Header=BB6_403 Depth=1
	v_mad_nc_u64_u32 v[68:69], v32, 24, v[6:7]
	v_dual_mov_b32 v9, v33 :: v_dual_lshlrev_b32 v8, 3, v65
	s_mov_b32 s21, exec_lo
	s_clause 0x1
	flat_load_b32 v70, v[68:69]
	flat_store_b64 v[68:69], v[8:9] offset:8
                                        ; implicit-def: $vgpr8_vgpr9
	s_wait_loadcnt_dscnt 0x1
	v_cmp_ne_u32_e32 vcc_lo, 1, v70
	s_wait_xcnt 0x0
	v_cmpx_eq_u32_e32 1, v70
	s_cbranch_execz .LBB6_422
; %bb.421:                              ;   in Loop: Header=BB6_403 Depth=1
	flat_load_b32 v8, v[68:69] offset:4 scope:SCOPE_SYS
	s_wait_loadcnt_dscnt 0x0
	v_ashrrev_i32_e32 v9, 31, v8
	s_delay_alu instid0(VALU_DEP_1)
	v_lshrrev_b64 v[8:9], 3, v[8:9]
.LBB6_422:                              ;   in Loop: Header=BB6_403 Depth=1
	s_wait_xcnt 0x0
	s_or_b32 exec_lo, exec_lo, s21
	s_delay_alu instid0(SALU_CYCLE_1)
	s_or_not1_b32 s10, vcc_lo, exec_lo
.LBB6_423:                              ;   in Loop: Header=BB6_403 Depth=1
	s_or_b32 exec_lo, exec_lo, s20
	s_and_saveexec_b32 s20, s10
; %bb.424:                              ;   in Loop: Header=BB6_403 Depth=1
	v_mul_u64_e32 v[8:9], v[32:33], v[20:21]
; %bb.425:                              ;   in Loop: Header=BB6_403 Depth=1
	s_or_b32 exec_lo, exec_lo, s20
	v_and_b32_e32 v32, 0x2000, v30
	s_delay_alu instid0(VALU_DEP_2)
	v_lshl_add_u64 v[8:9], v[8:9], 3, v[22:23]
	s_mov_b32 s10, exec_lo
	ds_store_b64 v0, v[8:9] offset:784
	v_cmpx_ne_u32_e32 0, v32
	s_cbranch_execz .LBB6_427
; %bb.426:                              ;   in Loop: Header=BB6_403 Depth=1
	ds_load_b64 v[8:9], v0 offset:872
	s_wait_dscnt 0x0
	v_add_nc_u64_e32 v[8:9], 1, v[8:9]
	ds_store_b64 v0, v[8:9] offset:872
.LBB6_427:                              ;   in Loop: Header=BB6_403 Depth=1
	s_or_b32 exec_lo, exec_lo, s10
	v_mov_b64_e32 v[8:9], v[66:67]
.LBB6_428:                              ;   in Loop: Header=BB6_403 Depth=1
	s_or_b32 exec_lo, exec_lo, s19
	s_and_saveexec_b32 s10, s2
	s_cbranch_execz .LBB6_447
; %bb.429:                              ;   in Loop: Header=BB6_403 Depth=1
	s_and_saveexec_b32 s19, s3
	s_delay_alu instid0(SALU_CYCLE_1)
	s_xor_b32 s19, exec_lo, s19
	s_cbranch_execz .LBB6_444
; %bb.430:                              ;   in Loop: Header=BB6_403 Depth=1
	s_and_saveexec_b32 s20, s4
	s_cbranch_execz .LBB6_443
; %bb.431:                              ;   in Loop: Header=BB6_403 Depth=1
	s_mov_b32 s22, exec_lo
	s_mov_b32 s21, exec_lo
	v_mbcnt_lo_u32_b32 v32, s22, 0
	global_wb scope:SCOPE_DEV
	s_wait_storecnt 0x0
	s_wait_loadcnt_dscnt 0x0
	global_inv scope:SCOPE_DEV
	v_cmpx_eq_u32_e32 0, v32
	s_cbranch_execz .LBB6_433
; %bb.432:                              ;   in Loop: Header=BB6_403 Depth=1
	s_bcnt1_i32_b32 s22, s22
	s_delay_alu instid0(SALU_CYCLE_1)
	v_mov_b32_e32 v32, s22
	s_wait_loadcnt 0x0
	ds_add_u64 v0, v[32:33]
	s_trap 2
.LBB6_433:                              ;   in Loop: Header=BB6_403 Depth=1
	s_or_b32 exec_lo, exec_lo, s21
	s_trap 2
	ds_load_b64 v[66:67], v0
	s_wait_dscnt 0x0
	v_add_nc_u64_e32 v[10:11], v[10:11], v[28:29]
	s_mov_b32 s21, exec_lo
	s_delay_alu instid0(VALU_DEP_1)
	v_cmpx_lt_u64_e64 v[66:67], v[10:11]
	s_cbranch_execz .LBB6_442
; %bb.434:                              ;   in Loop: Header=BB6_403 Depth=1
	s_mov_b32 s22, 0
	s_mov_b32 s25, 0
                                        ; implicit-def: $sgpr23
                                        ; implicit-def: $sgpr24
	s_branch .LBB6_436
.LBB6_435:                              ;   in Loop: Header=BB6_436 Depth=2
	s_or_b32 exec_lo, exec_lo, s27
	s_delay_alu instid0(SALU_CYCLE_1) | instskip(NEXT) | instid1(SALU_CYCLE_1)
	s_and_b32 s26, exec_lo, s28
	s_or_b32 s22, s26, s22
	s_and_not1_b32 s23, s23, exec_lo
	s_and_b32 s26, s24, exec_lo
	s_delay_alu instid0(SALU_CYCLE_1)
	s_or_b32 s23, s23, s26
	s_and_not1_b32 exec_lo, exec_lo, s22
	s_cbranch_execz .LBB6_440
.LBB6_436:                              ;   Parent Loop BB6_403 Depth=1
                                        ; =>  This Inner Loop Header: Depth=2
	s_add_co_i32 s25, s25, 1
	s_delay_alu instid0(SALU_CYCLE_1) | instskip(SKIP_1) | instid1(SALU_CYCLE_1)
	s_cmp_lg_u32 s25, 0x2710
	s_cselect_b32 s26, -1, 0
	s_and_b32 vcc_lo, exec_lo, s26
	s_cbranch_vccz .LBB6_438
; %bb.437:                              ;   in Loop: Header=BB6_436 Depth=2
	s_mov_b32 s28, -1
	s_or_b32 s24, s24, exec_lo
	s_and_saveexec_b32 s27, s26
	s_cbranch_execz .LBB6_435
	s_branch .LBB6_439
.LBB6_438:                              ;   in Loop: Header=BB6_436 Depth=2
	s_trap 2
	ds_load_b64 v[66:67], v0
	s_and_not1_b32 s26, s26, exec_lo
	s_mov_b32 s25, 0
	s_wait_loadcnt_dscnt 0x0
	flat_load_b32 v32, v[66:67] scope:SCOPE_SYS
	s_wait_loadcnt_dscnt 0x0
	global_inv scope:SCOPE_SYS
	v_cmp_eq_u32_e32 vcc_lo, 0, v32
	s_and_b32 s27, vcc_lo, exec_lo
	s_delay_alu instid0(SALU_CYCLE_1)
	s_or_b32 s26, s26, s27
	s_mov_b32 s28, -1
	s_or_b32 s24, s24, exec_lo
	s_and_saveexec_b32 s27, s26
	s_cbranch_execz .LBB6_435
.LBB6_439:                              ;   in Loop: Header=BB6_436 Depth=2
	s_sleep 1
	s_trap 2
	ds_load_b64 v[66:67], v0
	s_wait_dscnt 0x0
	s_and_not1_b32 s24, s24, exec_lo
	v_cmp_ge_u64_e32 vcc_lo, v[66:67], v[10:11]
	s_or_not1_b32 s28, vcc_lo, exec_lo
	s_branch .LBB6_435
.LBB6_440:                              ;   in Loop: Header=BB6_403 Depth=1
	s_or_b32 exec_lo, exec_lo, s22
	s_and_saveexec_b32 s22, s23
	s_delay_alu instid0(SALU_CYCLE_1)
	s_xor_b32 s22, exec_lo, s22
	s_cbranch_execz .LBB6_442
; %bb.441:                              ;   in Loop: Header=BB6_403 Depth=1
	ds_store_b32 v0, v87
	s_trap 2
.LBB6_442:                              ;   in Loop: Header=BB6_403 Depth=1
	s_or_b32 exec_lo, exec_lo, s21
	;;#ASMSTART
	s_wakeup
	;;#ASMEND
.LBB6_443:                              ;   in Loop: Header=BB6_403 Depth=1
	s_or_b32 exec_lo, exec_lo, s20
.LBB6_444:                              ;   in Loop: Header=BB6_403 Depth=1
	s_and_not1_saveexec_b32 s19, s19
	s_cbranch_execz .LBB6_446
; %bb.445:                              ;   in Loop: Header=BB6_403 Depth=1
	global_wb scope:SCOPE_DEV
	s_wait_storecnt 0x0
	s_wait_loadcnt_dscnt 0x0
	global_inv scope:SCOPE_DEV
	s_barrier_signal -1
	s_barrier_wait -1
.LBB6_446:                              ;   in Loop: Header=BB6_403 Depth=1
	s_or_b32 exec_lo, exec_lo, s19
.LBB6_447:                              ;   in Loop: Header=BB6_403 Depth=1
	s_delay_alu instid0(SALU_CYCLE_1) | instskip(SKIP_3) | instid1(VALU_DEP_1)
	s_or_b32 exec_lo, exec_lo, s10
	s_trap 2
	ds_load_b32 v70, v0
	v_and_b32_e32 v32, 0x4000, v30
	v_cmp_ne_u32_e32 vcc_lo, 0, v32
	s_and_b32 s19, s16, vcc_lo
	s_delay_alu instid0(SALU_CYCLE_1)
	s_and_saveexec_b32 s10, s19
	s_cbranch_execz .LBB6_466
; %bb.448:                              ;   in Loop: Header=BB6_403 Depth=1
	s_and_saveexec_b32 s19, s3
	s_delay_alu instid0(SALU_CYCLE_1)
	s_xor_b32 s19, exec_lo, s19
	s_cbranch_execz .LBB6_463
; %bb.449:                              ;   in Loop: Header=BB6_403 Depth=1
	s_and_saveexec_b32 s20, s4
	s_cbranch_execz .LBB6_462
; %bb.450:                              ;   in Loop: Header=BB6_403 Depth=1
	s_mov_b32 s22, exec_lo
	s_mov_b32 s21, exec_lo
	v_mbcnt_lo_u32_b32 v32, s22, 0
	global_wb scope:SCOPE_DEV
	s_wait_storecnt 0x0
	s_wait_loadcnt_dscnt 0x0
	global_inv scope:SCOPE_DEV
	v_cmpx_eq_u32_e32 0, v32
	s_cbranch_execz .LBB6_452
; %bb.451:                              ;   in Loop: Header=BB6_403 Depth=1
	s_bcnt1_i32_b32 s22, s22
	s_delay_alu instid0(SALU_CYCLE_1)
	v_mov_b32_e32 v32, s22
	s_wait_loadcnt 0x0
	ds_add_u64 v0, v[32:33]
	s_trap 2
.LBB6_452:                              ;   in Loop: Header=BB6_403 Depth=1
	s_or_b32 exec_lo, exec_lo, s21
	s_trap 2
	ds_load_b64 v[66:67], v0
	s_wait_dscnt 0x0
	v_add_nc_u64_e32 v[10:11], v[10:11], v[28:29]
	s_mov_b32 s21, exec_lo
	s_delay_alu instid0(VALU_DEP_1)
	v_cmpx_lt_u64_e64 v[66:67], v[10:11]
	s_cbranch_execz .LBB6_461
; %bb.453:                              ;   in Loop: Header=BB6_403 Depth=1
	s_mov_b32 s22, 0
	s_mov_b32 s25, 0
                                        ; implicit-def: $sgpr23
                                        ; implicit-def: $sgpr24
	s_branch .LBB6_455
.LBB6_454:                              ;   in Loop: Header=BB6_455 Depth=2
	s_or_b32 exec_lo, exec_lo, s27
	s_delay_alu instid0(SALU_CYCLE_1) | instskip(NEXT) | instid1(SALU_CYCLE_1)
	s_and_b32 s26, exec_lo, s28
	s_or_b32 s22, s26, s22
	s_and_not1_b32 s23, s23, exec_lo
	s_and_b32 s26, s24, exec_lo
	s_delay_alu instid0(SALU_CYCLE_1)
	s_or_b32 s23, s23, s26
	s_and_not1_b32 exec_lo, exec_lo, s22
	s_cbranch_execz .LBB6_459
.LBB6_455:                              ;   Parent Loop BB6_403 Depth=1
                                        ; =>  This Inner Loop Header: Depth=2
	s_add_co_i32 s25, s25, 1
	s_delay_alu instid0(SALU_CYCLE_1) | instskip(SKIP_1) | instid1(SALU_CYCLE_1)
	s_cmp_lg_u32 s25, 0x2710
	s_cselect_b32 s26, -1, 0
	s_and_b32 vcc_lo, exec_lo, s26
	s_cbranch_vccz .LBB6_457
; %bb.456:                              ;   in Loop: Header=BB6_455 Depth=2
	s_mov_b32 s28, -1
	s_or_b32 s24, s24, exec_lo
	s_and_saveexec_b32 s27, s26
	s_cbranch_execz .LBB6_454
	s_branch .LBB6_458
.LBB6_457:                              ;   in Loop: Header=BB6_455 Depth=2
	s_trap 2
	ds_load_b64 v[66:67], v0
	s_and_not1_b32 s26, s26, exec_lo
	s_mov_b32 s25, 0
	s_wait_loadcnt_dscnt 0x0
	flat_load_b32 v32, v[66:67] scope:SCOPE_SYS
	s_wait_loadcnt_dscnt 0x0
	global_inv scope:SCOPE_SYS
	v_cmp_eq_u32_e32 vcc_lo, 0, v32
	s_and_b32 s27, vcc_lo, exec_lo
	s_delay_alu instid0(SALU_CYCLE_1)
	s_or_b32 s26, s26, s27
	s_mov_b32 s28, -1
	s_or_b32 s24, s24, exec_lo
	s_and_saveexec_b32 s27, s26
	s_cbranch_execz .LBB6_454
.LBB6_458:                              ;   in Loop: Header=BB6_455 Depth=2
	s_sleep 1
	s_trap 2
	ds_load_b64 v[66:67], v0
	s_wait_dscnt 0x0
	s_and_not1_b32 s24, s24, exec_lo
	v_cmp_ge_u64_e32 vcc_lo, v[66:67], v[10:11]
	s_or_not1_b32 s28, vcc_lo, exec_lo
	s_branch .LBB6_454
.LBB6_459:                              ;   in Loop: Header=BB6_403 Depth=1
	s_or_b32 exec_lo, exec_lo, s22
	s_and_saveexec_b32 s22, s23
	s_delay_alu instid0(SALU_CYCLE_1)
	s_xor_b32 s22, exec_lo, s22
	s_cbranch_execz .LBB6_461
; %bb.460:                              ;   in Loop: Header=BB6_403 Depth=1
	ds_store_b32 v0, v87
	s_trap 2
.LBB6_461:                              ;   in Loop: Header=BB6_403 Depth=1
	s_or_b32 exec_lo, exec_lo, s21
	;;#ASMSTART
	s_wakeup
	;;#ASMEND
.LBB6_462:                              ;   in Loop: Header=BB6_403 Depth=1
	s_or_b32 exec_lo, exec_lo, s20
.LBB6_463:                              ;   in Loop: Header=BB6_403 Depth=1
	s_and_not1_saveexec_b32 s19, s19
	s_cbranch_execz .LBB6_465
; %bb.464:                              ;   in Loop: Header=BB6_403 Depth=1
	global_wb scope:SCOPE_DEV
	s_wait_storecnt 0x0
	s_wait_loadcnt_dscnt 0x0
	global_inv scope:SCOPE_DEV
	s_barrier_signal -1
	s_barrier_wait -1
.LBB6_465:                              ;   in Loop: Header=BB6_403 Depth=1
	s_or_b32 exec_lo, exec_lo, s19
.LBB6_466:                              ;   in Loop: Header=BB6_403 Depth=1
	s_delay_alu instid0(SALU_CYCLE_1)
	s_or_b32 exec_lo, exec_lo, s10
	s_trap 2
	ds_load_b64 v[66:67], v0
	s_wait_dscnt 0x0
	v_cmp_eq_u64_e32 vcc_lo, 0, v[66:67]
	s_cbranch_vccnz .LBB6_474
; %bb.467:                              ;   in Loop: Header=BB6_403 Depth=1
	s_trap 2
	ds_load_b64 v[68:69], v0
	s_wait_dscnt 0x0
	v_cmp_eq_u64_e32 vcc_lo, 0, v[68:69]
	s_cbranch_vccnz .LBB6_474
; %bb.468:                              ;   in Loop: Header=BB6_403 Depth=1
	s_mov_b32 s10, -1
	s_and_saveexec_b32 s19, s5
	s_cbranch_execz .LBB6_470
; %bb.469:                              ;   in Loop: Header=BB6_403 Depth=1
	ds_load_b32 v32, v0 offset:720
	s_wait_dscnt 0x0
	v_and_b32_e32 v32, 15, v32
	s_delay_alu instid0(VALU_DEP_1)
	v_cmp_eq_u32_e32 vcc_lo, 0, v32
	s_or_not1_b32 s10, vcc_lo, exec_lo
.LBB6_470:                              ;   in Loop: Header=BB6_403 Depth=1
	s_or_b32 exec_lo, exec_lo, s19
	s_and_saveexec_b32 s19, s6
	s_cbranch_execz .LBB6_472
; %bb.471:                              ;   in Loop: Header=BB6_403 Depth=1
	ds_load_b32 v32, v0 offset:784
	s_wait_dscnt 0x0
	v_and_b32_e32 v32, 15, v32
	s_delay_alu instid0(VALU_DEP_1) | instskip(SKIP_3) | instid1(SALU_CYCLE_1)
	v_cmp_eq_u32_e32 vcc_lo, 0, v32
	s_and_b32 s20, s10, vcc_lo
	s_and_not1_b32 s10, s10, exec_lo
	s_and_b32 s20, s20, exec_lo
	s_or_b32 s10, s10, s20
.LBB6_472:                              ;   in Loop: Header=BB6_403 Depth=1
	s_or_b32 exec_lo, exec_lo, s19
	v_cmp_eq_u32_e32 vcc_lo, 0, v70
	s_xor_b32 s10, s10, -1
	s_mov_b32 s20, -1
	v_cndmask_b32_e64 v71, 0, 1, s10
	v_dual_mov_b32 v97, 0 :: v_dual_cndmask_b32 v32, 0, v65
	s_delay_alu instid0(VALU_DEP_2) | instskip(NEXT) | instid1(VALU_DEP_2)
	v_cmp_ne_u32_e32 vcc_lo, 0, v71
	v_lshlrev_b32_e32 v96, 3, v32
	s_cbranch_vccz .LBB6_475
; %bb.473:                              ;   in Loop: Header=BB6_403 Depth=1
	v_dual_mov_b32 v98, v0 :: v_dual_mov_b32 v70, v85
	s_and_saveexec_b32 s10, s20
	s_cbranch_execnz .LBB6_488
	s_branch .LBB6_496
.LBB6_474:                              ;   in Loop: Header=BB6_403 Depth=1
	s_mov_b32 s10, 0
	s_and_saveexec_b32 s19, s2
	s_cbranch_execnz .LBB6_497
	s_branch .LBB6_515
.LBB6_475:                              ;   in Loop: Header=BB6_403 Depth=1
	v_lshrrev_b32_e32 v83, 9, v32
	s_mov_b32 s10, exec_lo
	s_delay_alu instid0(VALU_DEP_1) | instskip(NEXT) | instid1(VALU_DEP_1)
	v_sub_nc_u32_e32 v82, v83, v85
	v_cmpx_lt_i32_e32 0, v82
	s_cbranch_execz .LBB6_479
; %bb.476:                              ;   in Loop: Header=BB6_403 Depth=1
	v_mov_b64_e32 v[70:71], v[68:69]
	v_mov_b64_e32 v[80:81], v[66:67]
	s_mov_b32 s19, 0
.LBB6_477:                              ;   Parent Loop BB6_403 Depth=1
                                        ; =>  This Inner Loop Header: Depth=2
	s_delay_alu instid0(VALU_DEP_1)
	v_add_nc_u64_e32 v[102:103], v[48:49], v[80:81]
	v_sub_nc_u32_e32 v82, v82, v28
	v_add_nc_u64_e32 v[80:81], v[80:81], v[34:35]
	s_clause 0x7
	global_load_b128 v[98:101], v[102:103], off th:TH_LOAD_NT
	global_load_b128 v[112:115], v[102:103], off offset:512 th:TH_LOAD_NT
	global_load_b128 v[116:119], v[102:103], off offset:1024 th:TH_LOAD_NT
	;; [unrolled: 1-line block ×7, first 2 shown]
	s_wait_xcnt 0x0
	v_add_nc_u64_e32 v[102:103], v[48:49], v[70:71]
	v_add_nc_u64_e32 v[70:71], v[70:71], v[34:35]
	v_cmp_gt_i32_e32 vcc_lo, 1, v82
	s_wait_loadcnt 0x7
	global_store_b128 v[102:103], v[98:101], off th:TH_STORE_NT
	s_wait_loadcnt 0x6
	global_store_b128 v[102:103], v[112:115], off offset:512 th:TH_STORE_NT
	s_wait_loadcnt 0x5
	global_store_b128 v[102:103], v[116:119], off offset:1024 th:TH_STORE_NT
	;; [unrolled: 2-line block ×7, first 2 shown]
	s_or_b32 s19, vcc_lo, s19
	s_wait_xcnt 0x0
	s_and_not1_b32 exec_lo, exec_lo, s19
	s_cbranch_execnz .LBB6_477
; %bb.478:                              ;   in Loop: Header=BB6_403 Depth=1
	s_or_b32 exec_lo, exec_lo, s19
.LBB6_479:                              ;   in Loop: Header=BB6_403 Depth=1
	s_delay_alu instid0(SALU_CYCLE_1) | instskip(SKIP_3) | instid1(VALU_DEP_1)
	s_or_b32 exec_lo, exec_lo, s10
	v_dual_mov_b32 v97, 0 :: v_dual_lshlrev_b32 v80, 12, v83
	s_mov_b32 s20, 0
	s_mov_b32 s19, exec_lo
                                        ; implicit-def: $vgpr98
                                        ; implicit-def: $vgpr70
	v_cmpx_ne_u32_e64 v96, v80
	s_cbranch_execz .LBB6_487
; %bb.480:                              ;   in Loop: Header=BB6_403 Depth=1
	v_dual_lshlrev_b32 v70, 5, v82 :: v_dual_sub_nc_u32 v97, v96, v80
	s_mov_b32 s20, exec_lo
	s_delay_alu instid0(VALU_DEP_1) | instskip(NEXT) | instid1(VALU_DEP_1)
	v_dual_sub_nc_u32 v70, v86, v70 :: v_dual_ashrrev_i32 v81, 31, v97
	v_dual_ashrrev_i32 v71, 31, v70 :: v_dual_lshrrev_b32 v81, 23, v81
	s_delay_alu instid0(VALU_DEP_1) | instskip(NEXT) | instid1(VALU_DEP_1)
	v_lshrrev_b32_e32 v71, 27, v71
	v_add_nc_u32_e32 v71, v70, v71
	s_delay_alu instid0(VALU_DEP_1) | instskip(NEXT) | instid1(VALU_DEP_1)
	v_and_b32_e32 v82, 0xffffffe0, v71
	v_dual_add_nc_u32 v98, v97, v81 :: v_dual_sub_nc_u32 v82, v70, v82
	s_delay_alu instid0(VALU_DEP_1) | instskip(SKIP_1) | instid1(VALU_DEP_2)
	v_and_b32_e32 v81, 0xfffffe00, v98
	v_dual_ashrrev_i32 v71, 5, v71 :: v_dual_ashrrev_i32 v98, 9, v98
	v_dual_lshlrev_b32 v70, 4, v82 :: v_dual_sub_nc_u32 v83, v97, v81
	s_delay_alu instid0(VALU_DEP_1) | instskip(NEXT) | instid1(VALU_DEP_2)
	v_lshl_add_u32 v70, v71, 9, v70
	v_cmp_lt_i32_e32 vcc_lo, 15, v83
	s_delay_alu instid0(VALU_DEP_4) | instskip(NEXT) | instid1(VALU_DEP_1)
	v_add_co_ci_u32_e64 v98, null, 0, v98, vcc_lo
	v_dual_sub_nc_u32 v97, v97, v70 :: v_dual_sub_nc_u32 v99, v98, v71
	s_delay_alu instid0(VALU_DEP_1)
	v_cmpx_lt_i32_e32 15, v97
	s_cbranch_execz .LBB6_484
; %bb.481:                              ;   in Loop: Header=BB6_403 Depth=1
	v_add_nc_u32_e32 v70, v70, v80
	s_mov_b32 s21, 0
	s_delay_alu instid0(VALU_DEP_1)
	v_ashrrev_i32_e32 v71, 31, v70
.LBB6_482:                              ;   Parent Loop BB6_403 Depth=1
                                        ; =>  This Inner Loop Header: Depth=2
	s_delay_alu instid0(VALU_DEP_1) | instskip(SKIP_4) | instid1(VALU_DEP_4)
	v_add_nc_u64_e32 v[100:101], v[66:67], v[70:71]
	v_sub_nc_u32_e32 v97, v97, v36
	v_add_nc_u64_e32 v[112:113], v[68:69], v[70:71]
	v_add_nc_u64_e32 v[70:71], v[70:71], v[36:37]
	v_sub_nc_u32_e32 v99, v99, v28
	v_cmp_gt_i32_e64 s10, 16, v97
	global_load_b128 v[100:103], v[100:101], off th:TH_LOAD_NT
	s_or_b32 s21, s10, s21
	s_wait_loadcnt 0x0
	global_store_b128 v[112:113], v[100:103], off th:TH_STORE_NT
	s_wait_xcnt 0x0
	s_and_not1_b32 exec_lo, exec_lo, s21
	s_cbranch_execnz .LBB6_482
; %bb.483:                              ;   in Loop: Header=BB6_403 Depth=1
	s_or_b32 exec_lo, exec_lo, s21
.LBB6_484:                              ;   in Loop: Header=BB6_403 Depth=1
	s_delay_alu instid0(SALU_CYCLE_1) | instskip(SKIP_3) | instid1(VALU_DEP_1)
	s_or_b32 exec_lo, exec_lo, s20
	v_dual_mov_b32 v97, 0 :: v_dual_bitop2_b32 v71, 8, v96 bitop3:0x40
	s_mov_b32 s20, 0
	s_mov_b32 s21, exec_lo
                                        ; implicit-def: $vgpr98
                                        ; implicit-def: $vgpr70
	v_cndmask_b32_e32 v96, v83, v71, vcc_lo
	s_delay_alu instid0(VALU_DEP_1)
	v_cmpx_ne_u32_e32 0, v96
	s_cbranch_execz .LBB6_486
; %bb.485:                              ;   in Loop: Header=BB6_403 Depth=1
	v_cmp_lt_i32_e64 s10, 0, v99
	s_mov_b32 s20, exec_lo
	v_dual_sub_nc_u32 v71, v83, v71 :: v_dual_cndmask_b32 v70, 0, v28, s10
	s_delay_alu instid0(VALU_DEP_1) | instskip(NEXT) | instid1(VALU_DEP_2)
	v_cndmask_b32_e32 v71, 0, v71, vcc_lo
	v_sub_nc_u32_e32 v70, v70, v99
	s_delay_alu instid0(VALU_DEP_2) | instskip(NEXT) | instid1(VALU_DEP_2)
	v_add3_u32 v97, v81, v80, v71
	v_lshl_add_u32 v98, v70, 5, v82
	s_delay_alu instid0(VALU_DEP_1) | instskip(NEXT) | instid1(VALU_DEP_1)
	v_ashrrev_i32_e32 v70, 31, v98
	v_lshrrev_b32_e32 v70, 27, v70
	s_delay_alu instid0(VALU_DEP_1) | instskip(NEXT) | instid1(VALU_DEP_1)
	v_add_nc_u32_e32 v70, v98, v70
	v_ashrrev_i32_e32 v70, 5, v70
.LBB6_486:                              ;   in Loop: Header=BB6_403 Depth=1
	s_or_b32 exec_lo, exec_lo, s21
	s_delay_alu instid0(SALU_CYCLE_1)
	s_and_b32 s20, s20, exec_lo
.LBB6_487:                              ;   in Loop: Header=BB6_403 Depth=1
	s_or_b32 exec_lo, exec_lo, s19
	s_and_saveexec_b32 s10, s20
	s_cbranch_execz .LBB6_496
.LBB6_488:                              ;   in Loop: Header=BB6_403 Depth=1
	v_ashrrev_i32_e32 v71, 31, v96
	s_mov_b32 s19, exec_lo
	s_delay_alu instid0(VALU_DEP_1) | instskip(NEXT) | instid1(VALU_DEP_1)
	v_lshrrev_b32_e32 v71, 22, v71
	v_add_nc_u32_e32 v71, v96, v71
	s_delay_alu instid0(VALU_DEP_1) | instskip(NEXT) | instid1(VALU_DEP_1)
	v_dual_ashrrev_i32 v101, 10, v71 :: v_dual_ashrrev_i32 v71, 31, v98
	v_dual_sub_nc_u32 v99, v101, v70 :: v_dual_lshrrev_b32 v100, 27, v71
	s_delay_alu instid0(VALU_DEP_1)
	v_cmpx_lt_i32_e32 0, v99
	s_cbranch_execz .LBB6_492
; %bb.489:                              ;   in Loop: Header=BB6_403 Depth=1
	s_delay_alu instid0(VALU_DEP_2) | instskip(SKIP_3) | instid1(VALU_DEP_3)
	v_dual_add_nc_u32 v71, v98, v100 :: v_dual_lshlrev_b32 v70, 10, v70
	v_mov_b64_e32 v[80:81], v[68:69]
	v_mov_b64_e32 v[82:83], v[66:67]
	s_mov_b32 s20, 0
	v_and_b32_e32 v71, 0x1fffffe0, v71
	s_delay_alu instid0(VALU_DEP_1) | instskip(NEXT) | instid1(VALU_DEP_1)
	v_sub_nc_u32_e32 v71, v98, v71
	v_lshlrev_b32_e32 v71, 3, v71
	s_delay_alu instid0(VALU_DEP_1) | instskip(NEXT) | instid1(VALU_DEP_1)
	v_add3_u32 v70, v71, v97, v70
	v_ashrrev_i32_e32 v71, 31, v70
.LBB6_490:                              ;   Parent Loop BB6_403 Depth=1
                                        ; =>  This Inner Loop Header: Depth=2
	s_delay_alu instid0(VALU_DEP_1)
	v_add_nc_u64_e32 v[102:103], v[70:71], v[82:83]
	v_sub_nc_u32_e32 v99, v99, v28
	v_add_nc_u64_e32 v[118:119], v[70:71], v[80:81]
	v_add_nc_u64_e32 v[82:83], v[82:83], v[38:39]
	;; [unrolled: 1-line block ×3, first 2 shown]
	s_clause 0x3
	flat_load_b64 v[112:113], v[102:103] th:TH_LOAD_NT
	flat_load_b64 v[114:115], v[102:103] offset:256 th:TH_LOAD_NT
	flat_load_b64 v[116:117], v[102:103] offset:512 th:TH_LOAD_NT
	flat_load_b64 v[102:103], v[102:103] offset:768 th:TH_LOAD_NT
	v_cmp_gt_i32_e32 vcc_lo, 1, v99
	s_wait_loadcnt_dscnt 0x303
	flat_store_b64 v[118:119], v[112:113] th:TH_STORE_NT
	s_wait_loadcnt_dscnt 0x203
	flat_store_b64 v[118:119], v[114:115] offset:256 th:TH_STORE_NT
	s_wait_loadcnt_dscnt 0x103
	flat_store_b64 v[118:119], v[116:117] offset:512 th:TH_STORE_NT
	;; [unrolled: 2-line block ×3, first 2 shown]
	s_or_b32 s20, vcc_lo, s20
	s_wait_xcnt 0x0
	s_and_not1_b32 exec_lo, exec_lo, s20
	s_cbranch_execnz .LBB6_490
; %bb.491:                              ;   in Loop: Header=BB6_403 Depth=1
	s_or_b32 exec_lo, exec_lo, s20
.LBB6_492:                              ;   in Loop: Header=BB6_403 Depth=1
	s_delay_alu instid0(SALU_CYCLE_1) | instskip(SKIP_1) | instid1(VALU_DEP_1)
	s_or_b32 exec_lo, exec_lo, s19
	v_lshlrev_b32_e32 v70, 10, v101
	v_cmp_ne_u32_e32 vcc_lo, v96, v70
	s_and_b32 exec_lo, exec_lo, vcc_lo
	s_cbranch_execz .LBB6_496
; %bb.493:                              ;   in Loop: Header=BB6_403 Depth=1
	v_dual_add_nc_u32 v71, v98, v100 :: v_dual_lshlrev_b32 v80, 5, v99
	s_delay_alu instid0(VALU_DEP_1) | instskip(NEXT) | instid1(VALU_DEP_1)
	v_and_b32_e32 v71, 0xffffffe0, v71
	v_sub_nc_u32_e32 v71, v98, v71
	s_delay_alu instid0(VALU_DEP_1) | instskip(NEXT) | instid1(VALU_DEP_1)
	v_sub_nc_u32_e32 v71, v71, v80
	v_ashrrev_i32_e32 v80, 31, v71
	s_delay_alu instid0(VALU_DEP_1) | instskip(NEXT) | instid1(VALU_DEP_1)
	v_lshrrev_b32_e32 v80, 27, v80
	v_add_nc_u32_e32 v80, v71, v80
	s_delay_alu instid0(VALU_DEP_1) | instskip(NEXT) | instid1(VALU_DEP_1)
	v_and_b32_e32 v81, 0x1fffffe0, v80
	v_dual_lshlrev_b32 v80, 3, v80 :: v_dual_sub_nc_u32 v71, v71, v81
	s_delay_alu instid0(VALU_DEP_1) | instskip(NEXT) | instid1(VALU_DEP_2)
	v_and_b32_e32 v80, 0xffffff00, v80
	v_lshlrev_b32_e32 v71, 3, v71
	s_delay_alu instid0(VALU_DEP_1) | instskip(NEXT) | instid1(VALU_DEP_1)
	v_add3_u32 v70, v80, v71, v70
	v_sub_nc_u32_e32 v80, v96, v70
	s_delay_alu instid0(VALU_DEP_1)
	v_cmp_lt_i32_e32 vcc_lo, 7, v80
	s_and_b32 exec_lo, exec_lo, vcc_lo
	s_cbranch_execz .LBB6_496
; %bb.494:                              ;   in Loop: Header=BB6_403 Depth=1
	v_add_nc_u32_e32 v70, v70, v97
	s_mov_b32 s19, 0
	s_delay_alu instid0(VALU_DEP_1)
	v_ashrrev_i32_e32 v71, 31, v70
.LBB6_495:                              ;   Parent Loop BB6_403 Depth=1
                                        ; =>  This Inner Loop Header: Depth=2
	s_delay_alu instid0(VALU_DEP_1) | instskip(SKIP_3) | instid1(VALU_DEP_3)
	v_add_nc_u64_e32 v[82:83], v[66:67], v[70:71]
	v_sub_nc_u32_e32 v80, v80, v50
	v_add_nc_u64_e32 v[96:97], v[68:69], v[70:71]
	v_add_nc_u64_e32 v[70:71], v[70:71], v[50:51]
	v_cmp_gt_i32_e32 vcc_lo, 8, v80
	flat_load_b64 v[82:83], v[82:83] th:TH_LOAD_NT
	s_or_b32 s19, vcc_lo, s19
	s_wait_loadcnt_dscnt 0x0
	flat_store_b64 v[96:97], v[82:83] th:TH_STORE_NT
	s_wait_xcnt 0x0
	s_and_not1_b32 exec_lo, exec_lo, s19
	s_cbranch_execnz .LBB6_495
.LBB6_496:                              ;   in Loop: Header=BB6_403 Depth=1
	s_or_b32 exec_lo, exec_lo, s10
	v_cmp_ne_u32_e64 s10, 0, v32
	s_and_saveexec_b32 s19, s2
	s_cbranch_execz .LBB6_515
.LBB6_497:                              ;   in Loop: Header=BB6_403 Depth=1
	s_and_saveexec_b32 s20, s3
	s_delay_alu instid0(SALU_CYCLE_1)
	s_xor_b32 s20, exec_lo, s20
	s_cbranch_execz .LBB6_512
; %bb.498:                              ;   in Loop: Header=BB6_403 Depth=1
	s_and_saveexec_b32 s21, s4
	s_cbranch_execz .LBB6_511
; %bb.499:                              ;   in Loop: Header=BB6_403 Depth=1
	s_mov_b32 s23, exec_lo
	s_mov_b32 s22, exec_lo
	v_mbcnt_lo_u32_b32 v32, s23, 0
	global_wb scope:SCOPE_DEV
	s_wait_storecnt 0x0
	s_wait_loadcnt_dscnt 0x0
	global_inv scope:SCOPE_DEV
	v_cmpx_eq_u32_e32 0, v32
	s_cbranch_execz .LBB6_501
; %bb.500:                              ;   in Loop: Header=BB6_403 Depth=1
	s_bcnt1_i32_b32 s23, s23
	s_delay_alu instid0(SALU_CYCLE_1)
	v_mov_b32_e32 v32, s23
	s_wait_loadcnt 0x0
	ds_add_u64 v0, v[32:33]
	s_trap 2
.LBB6_501:                              ;   in Loop: Header=BB6_403 Depth=1
	s_or_b32 exec_lo, exec_lo, s22
	s_trap 2
	ds_load_b64 v[66:67], v0
	s_wait_dscnt 0x0
	v_add_nc_u64_e32 v[10:11], v[10:11], v[28:29]
	s_mov_b32 s22, exec_lo
	s_delay_alu instid0(VALU_DEP_1)
	v_cmpx_lt_u64_e64 v[66:67], v[10:11]
	s_cbranch_execz .LBB6_510
; %bb.502:                              ;   in Loop: Header=BB6_403 Depth=1
	s_mov_b32 s23, 0
	s_mov_b32 s26, 0
                                        ; implicit-def: $sgpr24
                                        ; implicit-def: $sgpr25
	s_branch .LBB6_504
.LBB6_503:                              ;   in Loop: Header=BB6_504 Depth=2
	s_or_b32 exec_lo, exec_lo, s28
	s_delay_alu instid0(SALU_CYCLE_1) | instskip(NEXT) | instid1(SALU_CYCLE_1)
	s_and_b32 s27, exec_lo, s29
	s_or_b32 s23, s27, s23
	s_and_not1_b32 s24, s24, exec_lo
	s_and_b32 s27, s25, exec_lo
	s_delay_alu instid0(SALU_CYCLE_1)
	s_or_b32 s24, s24, s27
	s_and_not1_b32 exec_lo, exec_lo, s23
	s_cbranch_execz .LBB6_508
.LBB6_504:                              ;   Parent Loop BB6_403 Depth=1
                                        ; =>  This Inner Loop Header: Depth=2
	s_add_co_i32 s26, s26, 1
	s_delay_alu instid0(SALU_CYCLE_1) | instskip(SKIP_1) | instid1(SALU_CYCLE_1)
	s_cmp_lg_u32 s26, 0x2710
	s_cselect_b32 s27, -1, 0
	s_and_b32 vcc_lo, exec_lo, s27
	s_cbranch_vccz .LBB6_506
; %bb.505:                              ;   in Loop: Header=BB6_504 Depth=2
	s_mov_b32 s29, -1
	s_or_b32 s25, s25, exec_lo
	s_and_saveexec_b32 s28, s27
	s_cbranch_execz .LBB6_503
	s_branch .LBB6_507
.LBB6_506:                              ;   in Loop: Header=BB6_504 Depth=2
	s_trap 2
	ds_load_b64 v[66:67], v0
	s_and_not1_b32 s27, s27, exec_lo
	s_mov_b32 s26, 0
	s_wait_loadcnt_dscnt 0x0
	flat_load_b32 v32, v[66:67] scope:SCOPE_SYS
	s_wait_loadcnt_dscnt 0x0
	global_inv scope:SCOPE_SYS
	v_cmp_eq_u32_e32 vcc_lo, 0, v32
	s_and_b32 s28, vcc_lo, exec_lo
	s_delay_alu instid0(SALU_CYCLE_1)
	s_or_b32 s27, s27, s28
	s_mov_b32 s29, -1
	s_or_b32 s25, s25, exec_lo
	s_and_saveexec_b32 s28, s27
	s_cbranch_execz .LBB6_503
.LBB6_507:                              ;   in Loop: Header=BB6_504 Depth=2
	s_sleep 1
	s_trap 2
	ds_load_b64 v[66:67], v0
	s_wait_dscnt 0x0
	s_and_not1_b32 s25, s25, exec_lo
	v_cmp_ge_u64_e32 vcc_lo, v[66:67], v[10:11]
	s_or_not1_b32 s29, vcc_lo, exec_lo
	s_branch .LBB6_503
.LBB6_508:                              ;   in Loop: Header=BB6_403 Depth=1
	s_or_b32 exec_lo, exec_lo, s23
	s_and_saveexec_b32 s23, s24
	s_delay_alu instid0(SALU_CYCLE_1)
	s_xor_b32 s23, exec_lo, s23
	s_cbranch_execz .LBB6_510
; %bb.509:                              ;   in Loop: Header=BB6_403 Depth=1
	ds_store_b32 v0, v87
	s_trap 2
.LBB6_510:                              ;   in Loop: Header=BB6_403 Depth=1
	s_or_b32 exec_lo, exec_lo, s22
	;;#ASMSTART
	s_wakeup
	;;#ASMEND
.LBB6_511:                              ;   in Loop: Header=BB6_403 Depth=1
	s_or_b32 exec_lo, exec_lo, s21
.LBB6_512:                              ;   in Loop: Header=BB6_403 Depth=1
	s_and_not1_saveexec_b32 s20, s20
	s_cbranch_execz .LBB6_514
; %bb.513:                              ;   in Loop: Header=BB6_403 Depth=1
	global_wb scope:SCOPE_DEV
	s_wait_storecnt 0x0
	s_wait_loadcnt_dscnt 0x0
	global_inv scope:SCOPE_DEV
	s_barrier_signal -1
	s_barrier_wait -1
.LBB6_514:                              ;   in Loop: Header=BB6_403 Depth=1
	s_or_b32 exec_lo, exec_lo, s20
.LBB6_515:                              ;   in Loop: Header=BB6_403 Depth=1
	s_delay_alu instid0(SALU_CYCLE_1) | instskip(SKIP_1) | instid1(VALU_DEP_1)
	s_or_b32 exec_lo, exec_lo, s19
	v_and_b32_e32 v32, 16, v30
	v_cmp_ne_u32_e32 vcc_lo, 0, v32
	s_and_b32 s19, vcc_lo, s10
	s_delay_alu instid0(SALU_CYCLE_1)
	s_and_saveexec_b32 s10, s19
	s_cbranch_execz .LBB6_517
; %bb.516:                              ;   in Loop: Header=BB6_403 Depth=1
	global_wb scope:SCOPE_SYS
	s_wait_storecnt 0x0
	s_wait_loadcnt_dscnt 0x0
	global_inv scope:SCOPE_SYS
.LBB6_517:                              ;   in Loop: Header=BB6_403 Depth=1
	s_or_b32 exec_lo, exec_lo, s10
	s_delay_alu instid0(SALU_CYCLE_1)
	s_mov_b32 s10, exec_lo
	v_cmpx_ne_u32_e32 0, v32
	s_cbranch_execz .LBB6_521
; %bb.518:                              ;   in Loop: Header=BB6_403 Depth=1
	s_and_saveexec_b32 s19, s7
	s_cbranch_execz .LBB6_520
; %bb.519:                              ;   in Loop: Header=BB6_403 Depth=1
	global_wb scope:SCOPE_SYS
	s_wait_storecnt 0x0
	s_wait_loadcnt_dscnt 0x0
	flat_store_b32 v[26:27], v87 scope:SCOPE_SYS
.LBB6_520:                              ;   in Loop: Header=BB6_403 Depth=1
	s_wait_xcnt 0x0
	s_or_b32 exec_lo, exec_lo, s19
	v_add_nc_u64_e32 v[8:9], 1, v[8:9]
	global_wb scope:SCOPE_SYS
	s_wait_storecnt 0x0
	s_wait_loadcnt_dscnt 0x0
	flat_store_b64 v[18:19], v[8:9] scope:SCOPE_SYS
.LBB6_521:                              ;   in Loop: Header=BB6_403 Depth=1
	s_wait_xcnt 0x0
	s_or_b32 exec_lo, exec_lo, s10
	v_mov_b32_e32 v32, v65
.LBB6_522:                              ;   in Loop: Header=BB6_403 Depth=1
	s_or_b32 exec_lo, exec_lo, s18
	s_and_saveexec_b32 s18, s17
	s_cbranch_execz .LBB6_402
; %bb.523:                              ;   in Loop: Header=BB6_403 Depth=1
	s_delay_alu instid0(VALU_DEP_1) | instskip(SKIP_1) | instid1(VALU_DEP_1)
	v_dual_sub_nc_u32 v32, v64, v32 :: v_dual_bitop2_b32 v66, 8, v30 bitop3:0x40
	s_mov_b32 s17, exec_lo
	v_min_i32_e32 v64, v65, v32
	s_delay_alu instid0(VALU_DEP_2)
	v_cmpx_ne_u32_e32 0, v66
	s_cbranch_execz .LBB6_545
; %bb.524:                              ;   in Loop: Header=BB6_403 Depth=1
	s_wait_loadcnt 0x0
	v_add_nc_u64_e32 v[68:69], 8, v[24:25]
	v_add_nc_u64_e32 v[66:67], 1, v[8:9]
	s_mov_b32 s19, exec_lo
	s_delay_alu instid0(VALU_DEP_1)
	v_cmpx_lt_u64_e64 v[68:69], v[66:67]
	s_cbranch_execz .LBB6_536
; %bb.525:                              ;   in Loop: Header=BB6_403 Depth=1
	v_and_b32_e32 v9, 64, v30
	s_mov_b32 s20, 0
	s_mov_b32 s24, 0
                                        ; implicit-def: $sgpr21
                                        ; implicit-def: $sgpr22
                                        ; implicit-def: $sgpr23
	s_delay_alu instid0(VALU_DEP_1)
	v_cmp_eq_u32_e32 vcc_lo, 0, v9
	s_branch .LBB6_529
.LBB6_526:                              ;   in Loop: Header=BB6_529 Depth=2
	s_wait_loadcnt_dscnt 0x0
	v_add_nc_u64_e32 v[68:69], 8, v[24:25]
	s_or_b32 s27, s27, exec_lo
	s_delay_alu instid0(VALU_DEP_1)
	v_cmp_ge_u64_e64 s10, v[68:69], v[66:67]
	s_or_not1_b32 s26, s10, exec_lo
.LBB6_527:                              ;   in Loop: Header=BB6_529 Depth=2
	s_or_b32 exec_lo, exec_lo, s29
	s_delay_alu instid0(SALU_CYCLE_1)
	s_and_not1_b32 s10, s23, exec_lo
	s_and_b32 s23, s27, exec_lo
	s_and_not1_b32 s22, s22, exec_lo
	s_and_b32 s26, s26, exec_lo
	s_or_b32 s23, s10, s23
	s_or_b32 s22, s22, s26
.LBB6_528:                              ;   in Loop: Header=BB6_529 Depth=2
	s_or_b32 exec_lo, exec_lo, s25
	s_delay_alu instid0(SALU_CYCLE_1) | instskip(NEXT) | instid1(SALU_CYCLE_1)
	s_and_b32 s10, exec_lo, s22
	s_or_b32 s20, s10, s20
	s_and_not1_b32 s10, s21, exec_lo
	s_and_b32 s21, s23, exec_lo
	s_delay_alu instid0(SALU_CYCLE_1)
	s_or_b32 s21, s10, s21
	s_and_not1_b32 exec_lo, exec_lo, s20
	s_cbranch_execz .LBB6_533
.LBB6_529:                              ;   Parent Loop BB6_403 Depth=1
                                        ; =>  This Inner Loop Header: Depth=2
	s_sleep 1
	s_wait_loadcnt_dscnt 0x0
	flat_load_b64 v[24:25], v[18:19] scope:SCOPE_SYS
	s_or_b32 s23, s23, exec_lo
	s_or_b32 s22, s22, exec_lo
                                        ; implicit-def: $vgpr9
	s_wait_xcnt 0x0
	s_and_saveexec_b32 s25, vcc_lo
	s_cbranch_execz .LBB6_528
; %bb.530:                              ;   in Loop: Header=BB6_529 Depth=2
	s_cmp_lt_i32 s24, 0x270f
	s_mov_b32 s26, -1
	s_cselect_b32 s28, -1, 0
	s_cmp_gt_i32 s24, 0x270e
	s_cbranch_scc0 .LBB6_532
; %bb.531:                              ;   in Loop: Header=BB6_529 Depth=2
	s_trap 2
	ds_load_b64 v[68:69], v0
	s_and_not1_b32 s24, s28, exec_lo
	s_mov_b32 s27, 0
	s_wait_storecnt 0x0
	s_wait_loadcnt_dscnt 0x0
	flat_load_b32 v9, v[68:69] scope:SCOPE_SYS
	s_wait_loadcnt_dscnt 0x0
	global_inv scope:SCOPE_SYS
	v_cmp_eq_u32_e64 s10, 0, v9
	s_and_b32 s10, s10, exec_lo
	s_delay_alu instid0(SALU_CYCLE_1)
	s_or_b32 s28, s24, s10
	s_mov_b32 s24, 0
	s_and_saveexec_b32 s29, s28
	s_cbranch_execz .LBB6_527
	s_branch .LBB6_526
.LBB6_532:                              ;   in Loop: Header=BB6_529 Depth=2
	s_add_co_i32 s24, s24, 1
	s_mov_b32 s27, -1
                                        ; implicit-def: $vgpr9
	s_and_saveexec_b32 s29, s28
	s_cbranch_execz .LBB6_527
	s_branch .LBB6_526
.LBB6_533:                              ;   in Loop: Header=BB6_403 Depth=1
	s_or_b32 exec_lo, exec_lo, s20
	s_xor_b32 s10, s21, -1
	s_delay_alu instid0(SALU_CYCLE_1) | instskip(NEXT) | instid1(SALU_CYCLE_1)
	s_and_saveexec_b32 s20, s10
	s_xor_b32 s10, exec_lo, s20
	s_cbranch_execz .LBB6_535
; %bb.534:                              ;   in Loop: Header=BB6_403 Depth=1
	v_or_b32_e32 v30, 64, v30
	s_wait_storecnt 0x0
	s_wait_loadcnt_dscnt 0x0
	ds_store_b32 v0, v9
	s_trap 2
.LBB6_535:                              ;   in Loop: Header=BB6_403 Depth=1
	s_or_b32 exec_lo, exec_lo, s10
.LBB6_536:                              ;   in Loop: Header=BB6_403 Depth=1
	s_delay_alu instid0(SALU_CYCLE_1) | instskip(SKIP_4) | instid1(VALU_DEP_2)
	s_or_b32 exec_lo, exec_lo, s19
	v_and_b32_e32 v9, 0x100, v30
	v_and_b32_e32 v32, 7, v8
	s_mov_b32 s19, 0
	;;#ASMSTART
	s_wakeup
	;;#ASMEND
	v_cmp_ne_u32_e32 vcc_lo, 0, v9
                                        ; implicit-def: $vgpr8_vgpr9
	s_and_saveexec_b32 s10, vcc_lo
	s_delay_alu instid0(SALU_CYCLE_1)
	s_xor_b32 s10, exec_lo, s10
	s_cbranch_execz .LBB6_557
; %bb.537:                              ;   in Loop: Header=BB6_403 Depth=1
	v_mad_nc_u64_u32 v[68:69], v32, 24, v[6:7]
	v_ashrrev_i32_e32 v65, 31, v64
	s_mov_b32 s19, -1
	s_mov_b32 s20, exec_lo
	s_delay_alu instid0(VALU_DEP_1)
	v_lshlrev_b64_e32 v[8:9], 3, v[64:65]
	s_clause 0x1
	flat_load_b32 v70, v[68:69]
	flat_store_b64 v[68:69], v[8:9] offset:8
                                        ; implicit-def: $vgpr8_vgpr9
	s_wait_loadcnt_dscnt 0x1
	v_cmpx_eq_u32_e32 1, v70
	s_cbranch_execz .LBB6_539
; %bb.538:                              ;   in Loop: Header=BB6_403 Depth=1
	flat_load_b32 v8, v[68:69] offset:4 scope:SCOPE_SYS
	s_xor_b32 s19, exec_lo, -1
	s_wait_loadcnt_dscnt 0x0
	v_ashrrev_i32_e32 v9, 31, v8
	s_delay_alu instid0(VALU_DEP_1)
	v_lshrrev_b64 v[8:9], 3, v[8:9]
.LBB6_539:                              ;   in Loop: Header=BB6_403 Depth=1
	s_wait_xcnt 0x0
	s_or_b32 exec_lo, exec_lo, s20
	s_delay_alu instid0(SALU_CYCLE_1)
	s_and_b32 s19, s19, exec_lo
	s_and_not1_saveexec_b32 s10, s10
	s_cbranch_execnz .LBB6_558
.LBB6_540:                              ;   in Loop: Header=BB6_403 Depth=1
	s_or_b32 exec_lo, exec_lo, s10
	s_and_saveexec_b32 s10, s19
.LBB6_541:                              ;   in Loop: Header=BB6_403 Depth=1
	v_mul_u64_e32 v[8:9], v[32:33], v[20:21]
.LBB6_542:                              ;   in Loop: Header=BB6_403 Depth=1
	s_or_b32 exec_lo, exec_lo, s10
	v_and_b32_e32 v32, 0x2000, v30
	s_delay_alu instid0(VALU_DEP_2)
	v_lshl_add_u64 v[8:9], v[8:9], 3, v[22:23]
	s_mov_b32 s10, exec_lo
	ds_store_b64 v0, v[8:9] offset:784
	v_cmpx_ne_u32_e32 0, v32
	s_cbranch_execz .LBB6_544
; %bb.543:                              ;   in Loop: Header=BB6_403 Depth=1
	ds_load_b64 v[8:9], v0 offset:872
	s_wait_dscnt 0x0
	v_add_nc_u64_e32 v[8:9], 1, v[8:9]
	ds_store_b64 v0, v[8:9] offset:872
.LBB6_544:                              ;   in Loop: Header=BB6_403 Depth=1
	s_or_b32 exec_lo, exec_lo, s10
	v_mov_b64_e32 v[8:9], v[66:67]
.LBB6_545:                              ;   in Loop: Header=BB6_403 Depth=1
	s_or_b32 exec_lo, exec_lo, s17
	s_and_saveexec_b32 s10, s2
	s_cbranch_execz .LBB6_566
; %bb.546:                              ;   in Loop: Header=BB6_403 Depth=1
	s_and_saveexec_b32 s17, s3
	s_delay_alu instid0(SALU_CYCLE_1)
	s_xor_b32 s17, exec_lo, s17
	s_cbranch_execz .LBB6_563
; %bb.547:                              ;   in Loop: Header=BB6_403 Depth=1
	s_and_saveexec_b32 s19, s4
	s_cbranch_execz .LBB6_562
; %bb.548:                              ;   in Loop: Header=BB6_403 Depth=1
	s_mov_b32 s21, exec_lo
	s_mov_b32 s20, exec_lo
	v_mbcnt_lo_u32_b32 v32, s21, 0
	global_wb scope:SCOPE_DEV
	s_wait_storecnt 0x0
	s_wait_loadcnt_dscnt 0x0
	global_inv scope:SCOPE_DEV
	v_cmpx_eq_u32_e32 0, v32
	s_cbranch_execz .LBB6_550
; %bb.549:                              ;   in Loop: Header=BB6_403 Depth=1
	s_bcnt1_i32_b32 s21, s21
	s_delay_alu instid0(SALU_CYCLE_1)
	v_mov_b32_e32 v32, s21
	s_wait_loadcnt 0x0
	ds_add_u64 v0, v[32:33]
	s_trap 2
.LBB6_550:                              ;   in Loop: Header=BB6_403 Depth=1
	s_or_b32 exec_lo, exec_lo, s20
	s_trap 2
	ds_load_b64 v[66:67], v0
	s_wait_dscnt 0x0
	v_add_nc_u64_e32 v[10:11], v[10:11], v[28:29]
	s_mov_b32 s20, exec_lo
	s_delay_alu instid0(VALU_DEP_1)
	v_cmpx_lt_u64_e64 v[66:67], v[10:11]
	s_cbranch_execz .LBB6_561
; %bb.551:                              ;   in Loop: Header=BB6_403 Depth=1
	s_mov_b32 s21, 0
	s_mov_b32 s24, 0
                                        ; implicit-def: $sgpr22
                                        ; implicit-def: $sgpr23
	s_branch .LBB6_553
.LBB6_552:                              ;   in Loop: Header=BB6_553 Depth=2
	s_or_b32 exec_lo, exec_lo, s26
	s_delay_alu instid0(SALU_CYCLE_1) | instskip(NEXT) | instid1(SALU_CYCLE_1)
	s_and_b32 s25, exec_lo, s27
	s_or_b32 s21, s25, s21
	s_and_not1_b32 s22, s22, exec_lo
	s_and_b32 s25, s23, exec_lo
	s_delay_alu instid0(SALU_CYCLE_1)
	s_or_b32 s22, s22, s25
	s_and_not1_b32 exec_lo, exec_lo, s21
	s_cbranch_execz .LBB6_559
.LBB6_553:                              ;   Parent Loop BB6_403 Depth=1
                                        ; =>  This Inner Loop Header: Depth=2
	s_add_co_i32 s24, s24, 1
	s_delay_alu instid0(SALU_CYCLE_1) | instskip(SKIP_1) | instid1(SALU_CYCLE_1)
	s_cmp_lg_u32 s24, 0x2710
	s_cselect_b32 s25, -1, 0
	s_and_b32 vcc_lo, exec_lo, s25
	s_cbranch_vccz .LBB6_555
; %bb.554:                              ;   in Loop: Header=BB6_553 Depth=2
	s_mov_b32 s27, -1
	s_or_b32 s23, s23, exec_lo
	s_and_saveexec_b32 s26, s25
	s_cbranch_execz .LBB6_552
	s_branch .LBB6_556
.LBB6_555:                              ;   in Loop: Header=BB6_553 Depth=2
	s_trap 2
	ds_load_b64 v[66:67], v0
	s_and_not1_b32 s25, s25, exec_lo
	s_mov_b32 s24, 0
	s_wait_loadcnt_dscnt 0x0
	flat_load_b32 v32, v[66:67] scope:SCOPE_SYS
	s_wait_loadcnt_dscnt 0x0
	global_inv scope:SCOPE_SYS
	v_cmp_eq_u32_e32 vcc_lo, 0, v32
	s_and_b32 s26, vcc_lo, exec_lo
	s_delay_alu instid0(SALU_CYCLE_1)
	s_or_b32 s25, s25, s26
	s_mov_b32 s27, -1
	s_or_b32 s23, s23, exec_lo
	s_and_saveexec_b32 s26, s25
	s_cbranch_execz .LBB6_552
.LBB6_556:                              ;   in Loop: Header=BB6_553 Depth=2
	s_sleep 1
	s_trap 2
	ds_load_b64 v[66:67], v0
	s_wait_dscnt 0x0
	s_and_not1_b32 s23, s23, exec_lo
	v_cmp_ge_u64_e32 vcc_lo, v[66:67], v[10:11]
	s_or_not1_b32 s27, vcc_lo, exec_lo
	s_branch .LBB6_552
.LBB6_557:                              ;   in Loop: Header=BB6_403 Depth=1
	s_and_not1_saveexec_b32 s10, s10
	s_cbranch_execz .LBB6_540
.LBB6_558:                              ;   in Loop: Header=BB6_403 Depth=1
	s_or_b32 s19, s19, exec_lo
	s_or_b32 exec_lo, exec_lo, s10
	s_and_saveexec_b32 s10, s19
	s_cbranch_execnz .LBB6_541
	s_branch .LBB6_542
.LBB6_559:                              ;   in Loop: Header=BB6_403 Depth=1
	s_or_b32 exec_lo, exec_lo, s21
	s_and_saveexec_b32 s21, s22
	s_delay_alu instid0(SALU_CYCLE_1)
	s_xor_b32 s21, exec_lo, s21
	s_cbranch_execz .LBB6_561
; %bb.560:                              ;   in Loop: Header=BB6_403 Depth=1
	ds_store_b32 v0, v87
	s_trap 2
.LBB6_561:                              ;   in Loop: Header=BB6_403 Depth=1
	s_or_b32 exec_lo, exec_lo, s20
	;;#ASMSTART
	s_wakeup
	;;#ASMEND
.LBB6_562:                              ;   in Loop: Header=BB6_403 Depth=1
	s_or_b32 exec_lo, exec_lo, s19
.LBB6_563:                              ;   in Loop: Header=BB6_403 Depth=1
	s_and_not1_saveexec_b32 s17, s17
	s_cbranch_execz .LBB6_565
; %bb.564:                              ;   in Loop: Header=BB6_403 Depth=1
	global_wb scope:SCOPE_DEV
	s_wait_storecnt 0x0
	s_wait_loadcnt_dscnt 0x0
	global_inv scope:SCOPE_DEV
	s_barrier_signal -1
	s_barrier_wait -1
.LBB6_565:                              ;   in Loop: Header=BB6_403 Depth=1
	s_or_b32 exec_lo, exec_lo, s17
.LBB6_566:                              ;   in Loop: Header=BB6_403 Depth=1
	s_delay_alu instid0(SALU_CYCLE_1)
	s_or_b32 exec_lo, exec_lo, s10
	s_trap 2
	ds_load_b32 v32, v0
	v_cmp_lt_i32_e32 vcc_lo, 0, v64
	s_wait_dscnt 0x0
	v_readfirstlane_b32 s10, v32
	v_and_b32_e32 v32, 16, v30
	s_cmp_eq_u32 s10, 0
	s_delay_alu instid0(VALU_DEP_1) | instskip(SKIP_1) | instid1(SALU_CYCLE_1)
	v_cmp_ne_u32_e64 s10, 0, v32
	s_cselect_b32 s17, -1, 0
	s_and_b32 s17, vcc_lo, s17
	s_delay_alu instid0(SALU_CYCLE_1) | instskip(NEXT) | instid1(SALU_CYCLE_1)
	s_and_b32 s17, s10, s17
	s_and_saveexec_b32 s10, s17
	s_cbranch_execz .LBB6_568
; %bb.567:                              ;   in Loop: Header=BB6_403 Depth=1
	global_wb scope:SCOPE_SYS
	s_wait_loadcnt 0x0
	s_wait_storecnt 0x0
	global_inv scope:SCOPE_SYS
.LBB6_568:                              ;   in Loop: Header=BB6_403 Depth=1
	s_or_b32 exec_lo, exec_lo, s10
	s_delay_alu instid0(SALU_CYCLE_1)
	s_mov_b32 s10, exec_lo
	v_cmpx_ne_u32_e32 0, v32
	s_cbranch_execz .LBB6_401
; %bb.569:                              ;   in Loop: Header=BB6_403 Depth=1
	s_and_saveexec_b32 s17, s7
	s_cbranch_execz .LBB6_400
; %bb.570:                              ;   in Loop: Header=BB6_403 Depth=1
	global_wb scope:SCOPE_SYS
	s_wait_loadcnt 0x0
	s_wait_storecnt 0x0
	flat_store_b32 v[26:27], v87 scope:SCOPE_SYS
	s_branch .LBB6_400
.LBB6_571:
	s_or_b32 exec_lo, exec_lo, s14
.LBB6_572:
	s_delay_alu instid0(SALU_CYCLE_1)
	s_or_b32 exec_lo, exec_lo, s13
.LBB6_573:
	s_delay_alu instid0(SALU_CYCLE_1) | instskip(SKIP_2) | instid1(VALU_DEP_1)
	s_or_b32 exec_lo, exec_lo, s12
	v_and_b32_e32 v0, 0x800, v30
	s_mov_b32 s1, exec_lo
	v_cmpx_eq_u32_e32 0, v0
	s_cbranch_execz .LBB6_606
; %bb.574:
	v_and_b32_e32 v0, 48, v30
	s_mov_b32 s0, exec_lo
	s_delay_alu instid0(VALU_DEP_1)
	v_cmpx_ne_u32_e32 0, v0
	s_cbranch_execz .LBB6_576
; %bb.575:
	s_wait_dscnt 0x0
	flat_store_b64 v[16:17], v[8:9] offset:104
.LBB6_576:
	s_wait_xcnt 0x0
	s_or_b32 exec_lo, exec_lo, s0
	v_and_b32_e32 v0, 0x88, v30
	s_mov_b32 s2, exec_lo
	s_delay_alu instid0(VALU_DEP_1)
	v_cmpx_eq_u32_e32 0x88, v0
	s_cbranch_execz .LBB6_586
; %bb.577:
	s_wait_dscnt 0x0
	v_add_nc_u32_e32 v0, -1, v8
	s_mov_b32 s3, 0
	s_delay_alu instid0(VALU_DEP_1) | instskip(NEXT) | instid1(VALU_DEP_1)
	v_and_b32_e32 v0, 7, v0
	v_mad_nc_u64_u32 v[4:5], v0, 24, v[6:7]
	v_and_b32_e32 v0, 64, v30
	s_delay_alu instid0(VALU_DEP_1)
	v_cmp_eq_u32_e64 s0, 0, v0
	flat_load_b64 v[6:7], v[4:5] offset:8 scope:SCOPE_SYS
	s_wait_loadcnt_dscnt 0x0
	v_cmp_ne_u64_e32 vcc_lo, -1, v[6:7]
	s_and_b32 s0, vcc_lo, s0
	s_wait_xcnt 0x0
	s_and_b32 exec_lo, exec_lo, s0
	s_cbranch_execz .LBB6_586
; %bb.578:
	s_mov_b32 s5, 0
                                        ; implicit-def: $sgpr0
                                        ; implicit-def: $sgpr4
	s_branch .LBB6_581
.LBB6_579:                              ;   in Loop: Header=BB6_581 Depth=1
	flat_load_b64 v[6:7], v[4:5] offset:8 scope:SCOPE_SYS
	s_wait_loadcnt 0x0
	s_and_not1_b32 s4, s4, exec_lo
	s_wait_dscnt 0x0
	v_cmp_eq_u64_e32 vcc_lo, -1, v[6:7]
	s_or_not1_b32 s7, vcc_lo, exec_lo
.LBB6_580:                              ;   in Loop: Header=BB6_581 Depth=1
	s_wait_xcnt 0x0
	s_or_b32 exec_lo, exec_lo, s10
	s_delay_alu instid0(SALU_CYCLE_1) | instskip(NEXT) | instid1(SALU_CYCLE_1)
	s_and_b32 s6, exec_lo, s7
	s_or_b32 s3, s6, s3
	s_and_not1_b32 s0, s0, exec_lo
	s_and_b32 s6, s4, exec_lo
	s_delay_alu instid0(SALU_CYCLE_1)
	s_or_b32 s0, s0, s6
	s_and_not1_b32 exec_lo, exec_lo, s3
	s_cbranch_execz .LBB6_584
.LBB6_581:                              ; =>This Inner Loop Header: Depth=1
	s_cmp_lt_i32 s5, 0x270f
	s_cselect_b32 s6, -1, 0
	s_delay_alu instid0(SALU_CYCLE_1)
	s_and_b32 vcc_lo, exec_lo, s6
	s_cbranch_vccnz .LBB6_583
; %bb.582:                              ;   in Loop: Header=BB6_581 Depth=1
	s_trap 2
	ds_load_b64 v[6:7], v0
	s_and_not1_b32 s6, s6, exec_lo
	s_mov_b32 s5, 0
	s_wait_storecnt_dscnt 0x0
	flat_load_b32 v0, v[6:7] scope:SCOPE_SYS
	s_wait_loadcnt_dscnt 0x0
	global_inv scope:SCOPE_SYS
	v_cmp_eq_u32_e32 vcc_lo, 0, v0
	s_and_b32 s7, vcc_lo, exec_lo
	s_delay_alu instid0(SALU_CYCLE_1)
	s_or_b32 s6, s6, s7
	s_mov_b32 s7, -1
	s_or_b32 s4, s4, exec_lo
	s_wait_xcnt 0x0
	s_and_saveexec_b32 s10, s6
	s_cbranch_execz .LBB6_580
	s_branch .LBB6_579
.LBB6_583:                              ;   in Loop: Header=BB6_581 Depth=1
	s_add_co_i32 s5, s5, 1
                                        ; implicit-def: $vgpr0
	s_mov_b32 s7, -1
	s_or_b32 s4, s4, exec_lo
	s_and_saveexec_b32 s10, s6
	s_cbranch_execz .LBB6_580
	s_branch .LBB6_579
.LBB6_584:
	s_or_b32 exec_lo, exec_lo, s3
	s_and_saveexec_b32 s3, s0
	s_delay_alu instid0(SALU_CYCLE_1)
	s_xor_b32 s3, exec_lo, s3
	s_cbranch_execz .LBB6_586
; %bb.585:
	s_wait_loadcnt 0x0
	s_wait_storecnt 0x0
	ds_store_b32 v0, v0
	s_trap 2
.LBB6_586:
	s_or_b32 exec_lo, exec_lo, s2
	v_and_b32_e32 v0, 0x2000, v30
	s_mov_b32 s0, exec_lo
	s_delay_alu instid0(VALU_DEP_1)
	v_cmpx_ne_u32_e32 0, v0
	s_cbranch_execz .LBB6_588
; %bb.587:
	s_trap 2
	ds_load_b64 v[4:5], v0
	s_wait_dscnt 0x0
	flat_store_b64 v[2:3], v[4:5] offset:16
.LBB6_588:
	s_wait_xcnt 0x0
	s_or_b32 exec_lo, exec_lo, s0
	v_cmp_ne_u32_e32 vcc_lo, 32, v1
	s_and_b32 exec_lo, exec_lo, vcc_lo
	s_cbranch_execz .LBB6_606
; %bb.589:
	s_mov_b32 s0, exec_lo
	v_cmpx_ne_u32_e64 v1, v84
	s_xor_b32 s0, exec_lo, s0
	s_cbranch_execz .LBB6_604
; %bb.590:
	v_and_b32_e32 v0, 31, v31
	s_mov_b32 s2, exec_lo
	s_delay_alu instid0(VALU_DEP_1)
	v_cmpx_eq_u32_e32 0, v0
	s_cbranch_execz .LBB6_603
; %bb.591:
	s_mov_b32 s4, exec_lo
	s_mov_b32 s3, exec_lo
	v_mbcnt_lo_u32_b32 v0, s4, 0
	global_wb scope:SCOPE_DEV
	s_wait_storecnt 0x0
	s_wait_loadcnt_dscnt 0x0
	global_inv scope:SCOPE_DEV
	v_cmpx_eq_u32_e32 0, v0
	s_cbranch_execz .LBB6_593
; %bb.592:
	s_bcnt1_i32_b32 s4, s4
	s_delay_alu instid0(SALU_CYCLE_1)
	v_dual_mov_b32 v3, 0 :: v_dual_mov_b32 v2, s4
	s_wait_loadcnt 0x0
	ds_add_u64 v0, v[2:3]
	s_trap 2
.LBB6_593:
	s_or_b32 exec_lo, exec_lo, s3
	s_trap 2
	ds_load_b64 v[2:3], v0
	s_wait_dscnt 0x0
	v_dual_mov_b32 v1, 0 :: v_dual_lshrrev_b32 v0, 5, v1
	s_mov_b32 s3, exec_lo
	s_delay_alu instid0(VALU_DEP_1) | instskip(NEXT) | instid1(VALU_DEP_1)
	v_add_nc_u64_e32 v[0:1], v[10:11], v[0:1]
	v_cmpx_lt_u64_e64 v[2:3], v[0:1]
	s_cbranch_execz .LBB6_602
; %bb.594:
	s_mov_b32 s4, 0
	s_mov_b32 s7, 0
                                        ; implicit-def: $sgpr5
                                        ; implicit-def: $sgpr6
	s_branch .LBB6_596
.LBB6_595:                              ;   in Loop: Header=BB6_596 Depth=1
	s_or_b32 exec_lo, exec_lo, s12
	s_delay_alu instid0(SALU_CYCLE_1) | instskip(NEXT) | instid1(SALU_CYCLE_1)
	s_and_b32 s10, exec_lo, s13
	s_or_b32 s4, s10, s4
	s_and_not1_b32 s5, s5, exec_lo
	s_and_b32 s10, s6, exec_lo
	s_delay_alu instid0(SALU_CYCLE_1)
	s_or_b32 s5, s5, s10
	s_and_not1_b32 exec_lo, exec_lo, s4
	s_cbranch_execz .LBB6_600
.LBB6_596:                              ; =>This Inner Loop Header: Depth=1
	s_add_co_i32 s7, s7, 1
	s_delay_alu instid0(SALU_CYCLE_1) | instskip(SKIP_1) | instid1(SALU_CYCLE_1)
	s_cmp_lg_u32 s7, 0x2710
	s_cselect_b32 s10, -1, 0
	s_and_b32 vcc_lo, exec_lo, s10
	s_cbranch_vccz .LBB6_598
; %bb.597:                              ;   in Loop: Header=BB6_596 Depth=1
	s_mov_b32 s13, -1
	s_or_b32 s6, s6, exec_lo
	s_and_saveexec_b32 s12, s10
	s_cbranch_execz .LBB6_595
	s_branch .LBB6_599
.LBB6_598:                              ;   in Loop: Header=BB6_596 Depth=1
	s_trap 2
	ds_load_b64 v[2:3], v0
	s_and_not1_b32 s10, s10, exec_lo
	s_mov_b32 s7, 0
	s_wait_loadcnt_dscnt 0x0
	flat_load_b32 v2, v[2:3] scope:SCOPE_SYS
	s_wait_loadcnt_dscnt 0x0
	global_inv scope:SCOPE_SYS
	v_cmp_eq_u32_e32 vcc_lo, 0, v2
	s_and_b32 s12, vcc_lo, exec_lo
	s_delay_alu instid0(SALU_CYCLE_1)
	s_or_b32 s10, s10, s12
	s_mov_b32 s13, -1
	s_or_b32 s6, s6, exec_lo
	s_and_saveexec_b32 s12, s10
	s_cbranch_execz .LBB6_595
.LBB6_599:                              ;   in Loop: Header=BB6_596 Depth=1
	s_sleep 1
	s_trap 2
	ds_load_b64 v[2:3], v0
	s_wait_dscnt 0x0
	s_and_not1_b32 s6, s6, exec_lo
	v_cmp_ge_u64_e32 vcc_lo, v[2:3], v[0:1]
	s_or_not1_b32 s13, vcc_lo, exec_lo
	s_branch .LBB6_595
.LBB6_600:
	s_or_b32 exec_lo, exec_lo, s4
	s_and_saveexec_b32 s4, s5
	s_delay_alu instid0(SALU_CYCLE_1)
	s_xor_b32 s4, exec_lo, s4
	s_cbranch_execz .LBB6_602
; %bb.601:
	v_mov_b32_e32 v0, 1
	ds_store_b32 v0, v0
	s_trap 2
.LBB6_602:
	s_or_b32 exec_lo, exec_lo, s3
	;;#ASMSTART
	s_wakeup
	;;#ASMEND
.LBB6_603:
	s_or_b32 exec_lo, exec_lo, s2
.LBB6_604:
	s_and_not1_saveexec_b32 s0, s0
	s_cbranch_execz .LBB6_606
; %bb.605:
	global_wb scope:SCOPE_DEV
	s_wait_storecnt 0x0
	s_wait_loadcnt_dscnt 0x0
	global_inv scope:SCOPE_DEV
	s_barrier_signal -1
	s_barrier_wait -1
.LBB6_606:
	s_or_b32 exec_lo, exec_lo, s1
.LBB6_607:
	s_and_not1_saveexec_b32 s21, s11
	s_cbranch_execz .LBB6_609
; %bb.608:
	s_get_pc_i64 s[0:1]
	s_add_nc_u64 s[0:1], s[0:1], __PRETTY_FUNCTION__._ZN10PrimitivesIm8FuncProdImE12FanSymmetricILi1EELi0E11ProtoSimpleILi1ELi1ELi0ELi4ELi0ELi0EELi0ELb0ELi0ELi0ELi0EEC2EiiPKiS8_PKvPvmhhhP15ncclDevWorkCollP14ncclDevWorkP2pii@rel64+4
	s_get_pc_i64 s[2:3]
	s_add_nc_u64 s[2:3], s[2:3], __assert_fail@rel64+4
	v_dual_mov_b32 v0, s0 :: v_dual_mov_b32 v1, s1
	s_swap_pc_i64 s[30:31], s[2:3]
	; divergent unreachable
.LBB6_609:
	s_or_b32 exec_lo, exec_lo, s21
	s_clause 0x17
	scratch_load_b32 v79, off, s33
	scratch_load_b32 v78, off, s33 offset:4
	scratch_load_b32 v77, off, s33 offset:8
	;; [unrolled: 1-line block ×23, first 2 shown]
	v_readlane_b32 s30, v88, 0
	v_readlane_b32 s31, v88, 1
	s_mov_b32 s32, s33
	s_wait_xcnt 0x0
	s_or_saveexec_b32 s0, -1
	scratch_load_b32 v88, off, s33 offset:96 ; 4-byte Folded Reload
	s_wait_xcnt 0x0
	s_mov_b32 exec_lo, s0
	s_mov_b32 s33, s43
	s_wait_loadcnt_dscnt 0x0
	s_set_pc_i64 s[30:31]
.Lfunc_end6:
	.size	_ZN12_GLOBAL__N_17runRingIm8FuncProdImE11ProtoSimpleILi1ELi1ELi0ELi4ELi0ELi0EELi0ELi4ELi0EEEviiP15ncclDevWorkColl, .Lfunc_end6-_ZN12_GLOBAL__N_17runRingIm8FuncProdImE11ProtoSimpleILi1ELi1ELi0ELi4ELi0ELi0EELi0ELi4ELi0EEEviiP15ncclDevWorkColl
                                        ; -- End function
	.set .L_ZN12_GLOBAL__N_17runRingIm8FuncProdImE11ProtoSimpleILi1ELi1ELi0ELi4ELi0ELi0EELi0ELi4ELi0EEEviiP15ncclDevWorkColl.num_vgpr, max(120, .L__assert_fail.num_vgpr)
	.set .L_ZN12_GLOBAL__N_17runRingIm8FuncProdImE11ProtoSimpleILi1ELi1ELi0ELi4ELi0ELi0EELi0ELi4ELi0EEEviiP15ncclDevWorkColl.num_agpr, max(0, .L__assert_fail.num_agpr)
	.set .L_ZN12_GLOBAL__N_17runRingIm8FuncProdImE11ProtoSimpleILi1ELi1ELi0ELi4ELi0ELi0EELi0ELi4ELi0EEEviiP15ncclDevWorkColl.numbered_sgpr, max(44, .L__assert_fail.numbered_sgpr)
	.set .L_ZN12_GLOBAL__N_17runRingIm8FuncProdImE11ProtoSimpleILi1ELi1ELi0ELi4ELi0ELi0EELi0ELi4ELi0EEEviiP15ncclDevWorkColl.num_named_barrier, max(0, .L__assert_fail.num_named_barrier)
	.set .L_ZN12_GLOBAL__N_17runRingIm8FuncProdImE11ProtoSimpleILi1ELi1ELi0ELi4ELi0ELi0EELi0ELi4ELi0EEEviiP15ncclDevWorkColl.private_seg_size, 112+max(.L__assert_fail.private_seg_size)
	.set .L_ZN12_GLOBAL__N_17runRingIm8FuncProdImE11ProtoSimpleILi1ELi1ELi0ELi4ELi0ELi0EELi0ELi4ELi0EEEviiP15ncclDevWorkColl.uses_vcc, or(1, .L__assert_fail.uses_vcc)
	.set .L_ZN12_GLOBAL__N_17runRingIm8FuncProdImE11ProtoSimpleILi1ELi1ELi0ELi4ELi0ELi0EELi0ELi4ELi0EEEviiP15ncclDevWorkColl.uses_flat_scratch, or(1, .L__assert_fail.uses_flat_scratch)
	.set .L_ZN12_GLOBAL__N_17runRingIm8FuncProdImE11ProtoSimpleILi1ELi1ELi0ELi4ELi0ELi0EELi0ELi4ELi0EEEviiP15ncclDevWorkColl.has_dyn_sized_stack, or(0, .L__assert_fail.has_dyn_sized_stack)
	.set .L_ZN12_GLOBAL__N_17runRingIm8FuncProdImE11ProtoSimpleILi1ELi1ELi0ELi4ELi0ELi0EELi0ELi4ELi0EEEviiP15ncclDevWorkColl.has_recursion, or(1, .L__assert_fail.has_recursion)
	.set .L_ZN12_GLOBAL__N_17runRingIm8FuncProdImE11ProtoSimpleILi1ELi1ELi0ELi4ELi0ELi0EELi0ELi4ELi0EEEviiP15ncclDevWorkColl.has_indirect_call, or(0, .L__assert_fail.has_indirect_call)
	.section	.AMDGPU.csdata,"",@progbits
; Function info:
; codeLenInByte = 21384
; TotalNumSgprs: 46
; NumVgprs: 120
; ScratchSize: 176
; MemoryBound: 1
	.text
	.p2align	2                               ; -- Begin function _Z45ncclDevFunc_Reduce_RING_SIMPLE_Prod_u64_0_0_4v
	.type	_Z45ncclDevFunc_Reduce_RING_SIMPLE_Prod_u64_0_0_4v,@function
_Z45ncclDevFunc_Reduce_RING_SIMPLE_Prod_u64_0_0_4v: ; @_Z45ncclDevFunc_Reduce_RING_SIMPLE_Prod_u64_0_0_4v
; %bb.0:
	s_wait_loadcnt_dscnt 0x0
	s_wait_kmcnt 0x0
	s_mov_b32 s59, s33
	s_mov_b32 s33, s32
	s_or_saveexec_b32 s0, -1
	scratch_store_b32 off, v42, s33 offset:12 ; 4-byte Folded Spill
	s_wait_xcnt 0x0
	s_mov_b32 exec_lo, s0
	s_add_co_i32 s32, s32, 32
	s_clause 0x2
	scratch_store_b32 off, v40, s33 offset:8
	; meta instruction
	scratch_store_b32 off, v41, s33 offset:4
	; meta instruction
	scratch_store_b32 off, v88, s33
	v_writelane_b32 v42, s30, 0
	v_writelane_b32 v42, s31, 1
	s_trap 2
	ds_load_b32 v0, v0
	s_wait_xcnt 0x2
	v_mov_b32_e32 v40, v31
	s_wait_dscnt 0x0
	v_cmp_gt_i32_e32 vcc_lo, 1, v0
	s_cbranch_vccnz .LBB7_8
; %bb.1:
	s_wait_xcnt 0x1
	v_and_b32_e32 v41, 0x3ff, v40
	s_mov_b32 s46, s12
	s_mov_b64 s[44:45], s[8:9]
	s_mov_b32 s47, 0
	s_get_pc_i64 s[56:57]
	s_add_nc_u64 s[56:57], s[56:57], _ZN12_GLOBAL__N_17runRingIm8FuncProdImE11ProtoSimpleILi1ELi1ELi0ELi4ELi0ELi0EELi0ELi4ELi0EEEviiP15ncclDevWorkColl@rel64+4
	s_branch .LBB7_3
.LBB7_2:                                ;   in Loop: Header=BB7_3 Depth=1
	s_or_b32 exec_lo, exec_lo, s58
	s_trap 2
	ds_load_b32 v0, v0
	s_add_co_i32 s47, s47, 1
	s_wait_dscnt 0x0
	v_cmp_lt_i32_e32 vcc_lo, s47, v0
	s_cbranch_vccz .LBB7_8
.LBB7_3:                                ; =>This Inner Loop Header: Depth=1
	s_trap 2
	ds_load_b32 v0, v0
	s_cmp_eq_u32 s47, 0
	s_cbranch_scc1 .LBB7_6
; %bb.4:                                ;   in Loop: Header=BB7_3 Depth=1
	s_trap 2
	s_wait_dscnt 0x0
	ds_load_b32 v1, v0
	s_wait_dscnt 0x0
	v_xor_b32_e32 v1, v1, v0
	s_delay_alu instid0(VALU_DEP_1) | instskip(NEXT) | instid1(VALU_DEP_1)
	v_and_b32_e32 v1, 0xff0000, v1
	v_cmp_eq_u32_e32 vcc_lo, 0, v1
	s_cbranch_vccnz .LBB7_6
; %bb.5:                                ;   in Loop: Header=BB7_3 Depth=1
	s_wait_storecnt 0x0
	s_barrier_signal -1
	s_barrier_wait -1
	ds_load_b32 v0, v0
.LBB7_6:                                ;   in Loop: Header=BB7_3 Depth=1
	s_wait_dscnt 0x0
	v_lshrrev_b32_e32 v0, 11, v0
	s_mov_b32 s58, exec_lo
	s_delay_alu instid0(VALU_DEP_1) | instskip(SKIP_1) | instid1(VALU_DEP_1)
	v_and_b32_e32 v1, 0x1fe0, v0
	s_wait_xcnt 0x0
	v_cmpx_lt_u32_e64 v41, v1
	s_cbranch_execz .LBB7_2
; %bb.7:                                ;   in Loop: Header=BB7_3 Depth=1
	s_mov_b64 s[0:1], src_shared_base
	v_dual_mov_b32 v31, v40 :: v_dual_mov_b32 v0, v41
	v_mov_b32_e32 v3, s1
	s_mov_b64 s[8:9], s[44:45]
	s_mov_b32 s12, s46
	s_swap_pc_i64 s[30:31], s[56:57]
	s_branch .LBB7_2
.LBB7_8:
	s_clause 0x2
	scratch_load_b32 v88, off, s33
	scratch_load_b32 v41, off, s33 offset:4
	scratch_load_b32 v40, off, s33 offset:8
	v_readlane_b32 s30, v42, 0
	v_readlane_b32 s31, v42, 1
	s_mov_b32 s32, s33
	s_wait_xcnt 0x0
	s_or_saveexec_b32 s0, -1
	scratch_load_b32 v42, off, s33 offset:12 ; 4-byte Folded Reload
	s_wait_xcnt 0x0
	s_mov_b32 exec_lo, s0
	s_mov_b32 s33, s59
	s_wait_loadcnt 0x0
	s_set_pc_i64 s[30:31]
.Lfunc_end7:
	.size	_Z45ncclDevFunc_Reduce_RING_SIMPLE_Prod_u64_0_0_4v, .Lfunc_end7-_Z45ncclDevFunc_Reduce_RING_SIMPLE_Prod_u64_0_0_4v
                                        ; -- End function
	.set .L_Z45ncclDevFunc_Reduce_RING_SIMPLE_Prod_u64_0_0_4v.num_vgpr, max(89, .L_ZN12_GLOBAL__N_17runRingIm8FuncProdImE11ProtoSimpleILi1ELi1ELi0ELi4ELi0ELi0EELi0ELi4ELi0EEEviiP15ncclDevWorkColl.num_vgpr)
	.set .L_Z45ncclDevFunc_Reduce_RING_SIMPLE_Prod_u64_0_0_4v.num_agpr, max(0, .L_ZN12_GLOBAL__N_17runRingIm8FuncProdImE11ProtoSimpleILi1ELi1ELi0ELi4ELi0ELi0EELi0ELi4ELi0EEEviiP15ncclDevWorkColl.num_agpr)
	.set .L_Z45ncclDevFunc_Reduce_RING_SIMPLE_Prod_u64_0_0_4v.numbered_sgpr, max(60, .L_ZN12_GLOBAL__N_17runRingIm8FuncProdImE11ProtoSimpleILi1ELi1ELi0ELi4ELi0ELi0EELi0ELi4ELi0EEEviiP15ncclDevWorkColl.numbered_sgpr)
	.set .L_Z45ncclDevFunc_Reduce_RING_SIMPLE_Prod_u64_0_0_4v.num_named_barrier, max(0, .L_ZN12_GLOBAL__N_17runRingIm8FuncProdImE11ProtoSimpleILi1ELi1ELi0ELi4ELi0ELi0EELi0ELi4ELi0EEEviiP15ncclDevWorkColl.num_named_barrier)
	.set .L_Z45ncclDevFunc_Reduce_RING_SIMPLE_Prod_u64_0_0_4v.private_seg_size, 32+max(.L_ZN12_GLOBAL__N_17runRingIm8FuncProdImE11ProtoSimpleILi1ELi1ELi0ELi4ELi0ELi0EELi0ELi4ELi0EEEviiP15ncclDevWorkColl.private_seg_size)
	.set .L_Z45ncclDevFunc_Reduce_RING_SIMPLE_Prod_u64_0_0_4v.uses_vcc, or(1, .L_ZN12_GLOBAL__N_17runRingIm8FuncProdImE11ProtoSimpleILi1ELi1ELi0ELi4ELi0ELi0EELi0ELi4ELi0EEEviiP15ncclDevWorkColl.uses_vcc)
	.set .L_Z45ncclDevFunc_Reduce_RING_SIMPLE_Prod_u64_0_0_4v.uses_flat_scratch, or(1, .L_ZN12_GLOBAL__N_17runRingIm8FuncProdImE11ProtoSimpleILi1ELi1ELi0ELi4ELi0ELi0EELi0ELi4ELi0EEEviiP15ncclDevWorkColl.uses_flat_scratch)
	.set .L_Z45ncclDevFunc_Reduce_RING_SIMPLE_Prod_u64_0_0_4v.has_dyn_sized_stack, or(0, .L_ZN12_GLOBAL__N_17runRingIm8FuncProdImE11ProtoSimpleILi1ELi1ELi0ELi4ELi0ELi0EELi0ELi4ELi0EEEviiP15ncclDevWorkColl.has_dyn_sized_stack)
	.set .L_Z45ncclDevFunc_Reduce_RING_SIMPLE_Prod_u64_0_0_4v.has_recursion, or(1, .L_ZN12_GLOBAL__N_17runRingIm8FuncProdImE11ProtoSimpleILi1ELi1ELi0ELi4ELi0ELi0EELi0ELi4ELi0EEEviiP15ncclDevWorkColl.has_recursion)
	.set .L_Z45ncclDevFunc_Reduce_RING_SIMPLE_Prod_u64_0_0_4v.has_indirect_call, or(0, .L_ZN12_GLOBAL__N_17runRingIm8FuncProdImE11ProtoSimpleILi1ELi1ELi0ELi4ELi0ELi0EELi0ELi4ELi0EEEviiP15ncclDevWorkColl.has_indirect_call)
	.section	.AMDGPU.csdata,"",@progbits
; Function info:
; codeLenInByte = 464
; TotalNumSgprs: 62
; NumVgprs: 120
; ScratchSize: 208
; MemoryBound: 0
	.text
	.p2alignl 7, 3214868480
	.fill 96, 4, 3214868480
	.section	.AMDGPU.gpr_maximums,"",@progbits
	.set amdgpu.max_num_vgpr, 120
	.set amdgpu.max_num_agpr, 0
	.set amdgpu.max_num_sgpr, 60
	.text
	.type	__const.__assert_fail.fmt,@object ; @__const.__assert_fail.fmt
	.section	.rodata.str1.16,"aMS",@progbits,1
	.p2align	4, 0x0
__const.__assert_fail.fmt:
	.asciz	"%s:%u: %s: Device-side assertion `%s' failed.\n"
	.size	__const.__assert_fail.fmt, 47

	.type	.str.3,@object                  ; @.str.3
	.section	.rodata.str1.1,"aMS",@progbits,1
.str.3:
	.asciz	"2*(nrecv+nsend) <= nthreads"
	.size	.str.3, 28

	.type	.str.4,@object                  ; @.str.4
.str.4:
	.asciz	"/root/src/amdgpu-assembly/repos/ROCm__rccl/hipify/src/device/prims_simple.h"
	.size	.str.4, 76

	.type	__PRETTY_FUNCTION__._ZN10PrimitivesIm8FuncProdImE12FanSymmetricILi1EELi0E11ProtoSimpleILi1ELi1ELi0ELi1ELi0ELi0EELi0ELb0ELi0ELi0ELi0EEC2EiiPKiS8_PKvPvmhhhP15ncclDevWorkCollP14ncclDevWorkP2pii,@object ; @__PRETTY_FUNCTION__._ZN10PrimitivesIm8FuncProdImE12FanSymmetricILi1EELi0E11ProtoSimpleILi1ELi1ELi0ELi1ELi0ELi0EELi0ELb0ELi0ELi0ELi0EEC2EiiPKiS8_PKvPvmhhhP15ncclDevWorkCollP14ncclDevWorkP2pii
__PRETTY_FUNCTION__._ZN10PrimitivesIm8FuncProdImE12FanSymmetricILi1EELi0E11ProtoSimpleILi1ELi1ELi0ELi1ELi0ELi0EELi0ELb0ELi0ELi0ELi0EEC2EiiPKiS8_PKvPvmhhhP15ncclDevWorkCollP14ncclDevWorkP2pii:
	.asciz	"Primitives<unsigned long, FuncProd<unsigned long>, FanSymmetric<1>, 0, ProtoSimple<1, 1, 0, 1>, 0>::Primitives(int, int, const int *, const int *, const void *, void *, uint64_t, uint8_t, uint8_t, uint8_t, struct ncclDevWorkColl *, struct ncclDevWorkP2p *, int, int) [T = unsigned long, RedOp = FuncProd<unsigned long>, Fan = FanSymmetric<1>, Direct = 0, Proto = ProtoSimple<1, 1, 0, 1>, P2p = 0, isNetOffload = false, Metadata = 0, Pipeline = 0, useAcc = 0]"
	.size	__PRETTY_FUNCTION__._ZN10PrimitivesIm8FuncProdImE12FanSymmetricILi1EELi0E11ProtoSimpleILi1ELi1ELi0ELi1ELi0ELi0EELi0ELb0ELi0ELi0ELi0EEC2EiiPKiS8_PKvPvmhhhP15ncclDevWorkCollP14ncclDevWorkP2pii, 459

	.type	__PRETTY_FUNCTION__._ZN10PrimitivesIm8FuncProdImE12FanSymmetricILi1EELi0E11ProtoSimpleILi1ELi1ELi0ELi2ELi0ELi0EELi0ELb0ELi0ELi0ELi0EEC2EiiPKiS8_PKvPvmhhhP15ncclDevWorkCollP14ncclDevWorkP2pii,@object ; @__PRETTY_FUNCTION__._ZN10PrimitivesIm8FuncProdImE12FanSymmetricILi1EELi0E11ProtoSimpleILi1ELi1ELi0ELi2ELi0ELi0EELi0ELb0ELi0ELi0ELi0EEC2EiiPKiS8_PKvPvmhhhP15ncclDevWorkCollP14ncclDevWorkP2pii
__PRETTY_FUNCTION__._ZN10PrimitivesIm8FuncProdImE12FanSymmetricILi1EELi0E11ProtoSimpleILi1ELi1ELi0ELi2ELi0ELi0EELi0ELb0ELi0ELi0ELi0EEC2EiiPKiS8_PKvPvmhhhP15ncclDevWorkCollP14ncclDevWorkP2pii:
	.asciz	"Primitives<unsigned long, FuncProd<unsigned long>, FanSymmetric<1>, 0, ProtoSimple<1, 1, 0, 2>, 0>::Primitives(int, int, const int *, const int *, const void *, void *, uint64_t, uint8_t, uint8_t, uint8_t, struct ncclDevWorkColl *, struct ncclDevWorkP2p *, int, int) [T = unsigned long, RedOp = FuncProd<unsigned long>, Fan = FanSymmetric<1>, Direct = 0, Proto = ProtoSimple<1, 1, 0, 2>, P2p = 0, isNetOffload = false, Metadata = 0, Pipeline = 0, useAcc = 0]"
	.size	__PRETTY_FUNCTION__._ZN10PrimitivesIm8FuncProdImE12FanSymmetricILi1EELi0E11ProtoSimpleILi1ELi1ELi0ELi2ELi0ELi0EELi0ELb0ELi0ELi0ELi0EEC2EiiPKiS8_PKvPvmhhhP15ncclDevWorkCollP14ncclDevWorkP2pii, 459

	.type	__PRETTY_FUNCTION__._ZN10PrimitivesIm8FuncProdImE12FanSymmetricILi1EELi0E11ProtoSimpleILi1ELi1ELi0ELi4ELi0ELi0EELi0ELb0ELi0ELi0ELi0EEC2EiiPKiS8_PKvPvmhhhP15ncclDevWorkCollP14ncclDevWorkP2pii,@object ; @__PRETTY_FUNCTION__._ZN10PrimitivesIm8FuncProdImE12FanSymmetricILi1EELi0E11ProtoSimpleILi1ELi1ELi0ELi4ELi0ELi0EELi0ELb0ELi0ELi0ELi0EEC2EiiPKiS8_PKvPvmhhhP15ncclDevWorkCollP14ncclDevWorkP2pii
__PRETTY_FUNCTION__._ZN10PrimitivesIm8FuncProdImE12FanSymmetricILi1EELi0E11ProtoSimpleILi1ELi1ELi0ELi4ELi0ELi0EELi0ELb0ELi0ELi0ELi0EEC2EiiPKiS8_PKvPvmhhhP15ncclDevWorkCollP14ncclDevWorkP2pii:
	.asciz	"Primitives<unsigned long, FuncProd<unsigned long>, FanSymmetric<1>, 0, ProtoSimple<1, 1, 0, 4>, 0>::Primitives(int, int, const int *, const int *, const void *, void *, uint64_t, uint8_t, uint8_t, uint8_t, struct ncclDevWorkColl *, struct ncclDevWorkP2p *, int, int) [T = unsigned long, RedOp = FuncProd<unsigned long>, Fan = FanSymmetric<1>, Direct = 0, Proto = ProtoSimple<1, 1, 0, 4>, P2p = 0, isNetOffload = false, Metadata = 0, Pipeline = 0, useAcc = 0]"
	.size	__PRETTY_FUNCTION__._ZN10PrimitivesIm8FuncProdImE12FanSymmetricILi1EELi0E11ProtoSimpleILi1ELi1ELi0ELi4ELi0ELi0EELi0ELb0ELi0ELi0ELi0EEC2EiiPKiS8_PKvPvmhhhP15ncclDevWorkCollP14ncclDevWorkP2pii, 459

	.type	__hip_cuid_98044d8d47dcd849,@object ; @__hip_cuid_98044d8d47dcd849
	.section	.bss,"aw",@nobits
	.globl	__hip_cuid_98044d8d47dcd849
__hip_cuid_98044d8d47dcd849:
	.byte	0                               ; 0x0
	.size	__hip_cuid_98044d8d47dcd849, 1

	.ident	"AMD clang version 22.0.0git (https://github.com/RadeonOpenCompute/llvm-project roc-7.2.4 26084 f58b06dce1f9c15707c5f808fd002e18c2accf7e)"
	.section	".note.GNU-stack","",@progbits
	.addrsig
	.addrsig_sym _Z45ncclDevFunc_Reduce_RING_SIMPLE_Prod_u64_0_0_1v
	.addrsig_sym _Z45ncclDevFunc_Reduce_RING_SIMPLE_Prod_u64_0_0_2v
	.addrsig_sym _Z45ncclDevFunc_Reduce_RING_SIMPLE_Prod_u64_0_0_4v
	.addrsig_sym ncclShmem
	.addrsig_sym __hip_cuid_98044d8d47dcd849
	.amdgpu_metadata
---
amdhsa.kernels:  []
amdhsa.target:   amdgcn-amd-amdhsa--gfx1250
amdhsa.version:
  - 1
  - 2
...

	.end_amdgpu_metadata
